;; amdgpu-corpus repo=ROCm/rocBLAS kind=compiled arch=gfx1250 opt=O3
	.amdgcn_target "amdgcn-amd-amdhsa--gfx1250"
	.amdhsa_code_object_version 6
	.section	.text._ZL35rocblas_iamax_iamin_kernel_part1_64ILi1024E26rocblas_fetch_amax_amin_64IfE22rocblas_reduce_amax_64PKf24rocblas_index_64_value_tIfEEvlT2_lllPT3_,"axG",@progbits,_ZL35rocblas_iamax_iamin_kernel_part1_64ILi1024E26rocblas_fetch_amax_amin_64IfE22rocblas_reduce_amax_64PKf24rocblas_index_64_value_tIfEEvlT2_lllPT3_,comdat
	.globl	_ZL35rocblas_iamax_iamin_kernel_part1_64ILi1024E26rocblas_fetch_amax_amin_64IfE22rocblas_reduce_amax_64PKf24rocblas_index_64_value_tIfEEvlT2_lllPT3_ ; -- Begin function _ZL35rocblas_iamax_iamin_kernel_part1_64ILi1024E26rocblas_fetch_amax_amin_64IfE22rocblas_reduce_amax_64PKf24rocblas_index_64_value_tIfEEvlT2_lllPT3_
	.p2align	8
	.type	_ZL35rocblas_iamax_iamin_kernel_part1_64ILi1024E26rocblas_fetch_amax_amin_64IfE22rocblas_reduce_amax_64PKf24rocblas_index_64_value_tIfEEvlT2_lllPT3_,@function
_ZL35rocblas_iamax_iamin_kernel_part1_64ILi1024E26rocblas_fetch_amax_amin_64IfE22rocblas_reduce_amax_64PKf24rocblas_index_64_value_tIfEEvlT2_lllPT3_: ; @_ZL35rocblas_iamax_iamin_kernel_part1_64ILi1024E26rocblas_fetch_amax_amin_64IfE22rocblas_reduce_amax_64PKf24rocblas_index_64_value_tIfEEvlT2_lllPT3_
; %bb.0:
	s_clause 0x1
	s_load_b256 s[8:15], s[0:1], 0x0
	s_load_b128 s[4:7], s[0:1], 0x20
	s_bfe_u32 s2, ttmp6, 0x40014
	s_lshr_b32 s3, ttmp7, 16
	s_add_co_i32 s2, s2, 1
	s_bfe_u32 s17, ttmp6, 0x4000c
	s_mul_i32 s2, s3, s2
	s_bfe_u32 s16, ttmp6, 0x40008
	s_add_co_i32 s17, s17, 1
	s_add_co_i32 s2, s16, s2
	s_and_b32 s16, ttmp6, 15
	s_mul_i32 s17, ttmp9, s17
	s_getreg_b32 s18, hwreg(HW_REG_IB_STS2, 6, 4)
	s_add_co_i32 s16, s16, s17
	s_cmp_eq_u32 s18, 0
	s_cselect_b32 s16, ttmp9, s16
	s_cselect_b32 s18, s3, s2
	s_wait_kmcnt 0x0
	v_cmp_lt_i64_e64 s19, s[8:9], 1
	s_and_b32 vcc_lo, exec_lo, s19
	s_mov_b32 s19, 0
	s_cbranch_vccnz .LBB0_53
; %bb.1:
	v_lshl_or_b32 v6, s16, 10, v0
	v_dual_mov_b32 v7, 0 :: v_dual_bitop2_b32 v2, 31, v0 bitop3:0x40
	v_mbcnt_lo_u32_b32 v3, -1, 0
	s_load_b32 s17, s[0:1], 0x30
	s_mul_u64 s[4:5], s[4:5], s[18:19]
	s_delay_alu instid0(VALU_DEP_2)
	v_mul_u64_e32 v[10:11], s[14:15], v[6:7]
	v_lshlrev_b32_e32 v1, 4, v2
	v_cmp_gt_u32_e32 vcc_lo, 24, v3
	s_lshl_b64 s[12:13], s[12:13], 2
	s_lshl_b64 s[4:5], s[4:5], 2
	s_add_nc_u64 s[10:11], s[10:11], s[12:13]
	v_lshl_or_b32 v5, v3, 2, 64
	v_cndmask_b32_e64 v4, 0, 8, vcc_lo
	v_cmp_gt_u32_e32 vcc_lo, 28, v3
	v_cmp_eq_u32_e64 s3, 0, v2
	s_add_nc_u64 s[4:5], s[10:11], s[4:5]
	s_mov_b32 s21, s19
	v_add_lshl_u32 v16, v4, v3, 2
	v_cndmask_b32_e64 v8, 0, 4, vcc_lo
	v_cmp_gt_u32_e32 vcc_lo, 30, v3
	v_lshrrev_b32_e32 v4, 1, v0
	v_cmp_gt_u32_e64 s2, 32, v0
	s_mov_b64 s[12:13], 0
	v_add_lshl_u32 v17, v8, v3, 2
	v_cndmask_b32_e64 v9, 0, 2, vcc_lo
	v_cmp_ne_u32_e32 vcc_lo, 31, v3
	v_and_b32_e32 v20, 0x1f0, v4
	s_wait_kmcnt 0x0
	s_lshl_b32 s20, s17, 10
                                        ; implicit-def: $vgpr21
	v_add_lshl_u32 v18, v9, v3, 2
	v_add_co_ci_u32_e64 v12, null, 0, v3, vcc_lo
	v_cmp_ne_u32_e32 vcc_lo, 0, v0
	v_mov_b64_e32 v[8:9], 0
	v_mov_b64_e32 v[2:3], 0
	s_delay_alu instid0(VALU_DEP_4)
	v_lshlrev_b32_e32 v19, 2, v12
	s_mul_u64 s[10:11], s[14:15], s[20:21]
	v_lshl_add_u64 v[10:11], v[10:11], 2, s[4:5]
	s_lshl_b64 s[10:11], s[10:11], 2
	s_xor_b32 s14, vcc_lo, -1
	s_branch .LBB0_4
.LBB0_2:                                ;   in Loop: Header=BB0_4 Depth=1
	s_or_b32 exec_lo, exec_lo, s4
	s_delay_alu instid0(VALU_DEP_1)
	v_mov_b64_e32 v[2:3], v[12:13]
	v_mov_b32_e32 v4, v14
.LBB0_3:                                ;   in Loop: Header=BB0_4 Depth=1
	s_or_b32 exec_lo, exec_lo, s5
	s_add_nc_u64 s[12:13], s[12:13], s[20:21]
	v_add_nc_u64_e32 v[10:11], s[10:11], v[10:11]
	v_cmp_ge_i64_e64 s4, s[12:13], s[8:9]
	s_and_b32 vcc_lo, exec_lo, s4
	s_cbranch_vccnz .LBB0_54
.LBB0_4:                                ; =>This Inner Loop Header: Depth=1
	v_add_nc_u64_e32 v[14:15], s[12:13], v[6:7]
	v_mov_b64_e32 v[12:13], 0
	s_mov_b32 s4, exec_lo
	s_delay_alu instid0(VALU_DEP_2)
	v_cmpx_gt_i64_e64 s[8:9], v[14:15]
	s_cbranch_execz .LBB0_6
; %bb.5:                                ;   in Loop: Header=BB0_4 Depth=1
	s_wait_dscnt 0x0
	global_load_b32 v21, v[10:11], off
	v_add_nc_u64_e32 v[12:13], 1, v[14:15]
	s_wait_loadcnt 0x0
	v_cmp_gt_f32_e32 vcc_lo, 0, v21
	v_cndmask_b32_e64 v21, v21, -v21, vcc_lo
.LBB0_6:                                ;   in Loop: Header=BB0_4 Depth=1
	s_wait_xcnt 0x0
	s_or_b32 exec_lo, exec_lo, s4
	s_and_saveexec_b32 s4, s2
	s_cbranch_execz .LBB0_8
; %bb.7:                                ;   in Loop: Header=BB0_4 Depth=1
	ds_store_b64 v1, v[8:9]
	ds_store_b32 v1, v7 offset:8
.LBB0_8:                                ;   in Loop: Header=BB0_4 Depth=1
	s_or_b32 exec_lo, exec_lo, s4
	ds_bpermute_b32 v14, v5, v12
	ds_bpermute_b32 v15, v5, v13
	s_wait_dscnt 0x2
	ds_bpermute_b32 v23, v5, v21
	v_mov_b32_e32 v22, v21
	s_mov_b32 s5, exec_lo
	s_wait_dscnt 0x0
	s_barrier_signal -1
	s_barrier_wait -1
	v_cmpx_ne_u64_e32 0, v[14:15]
	s_cbranch_execz .LBB0_12
; %bb.9:                                ;   in Loop: Header=BB0_4 Depth=1
	v_cmp_ne_u64_e32 vcc_lo, 0, v[12:13]
	v_cmp_nlt_f32_e64 s4, v21, v23
	s_and_b32 s15, vcc_lo, s4
	s_delay_alu instid0(SALU_CYCLE_1)
	s_and_saveexec_b32 s4, s15
	s_cbranch_execz .LBB0_11
; %bb.10:                               ;   in Loop: Header=BB0_4 Depth=1
	v_min_i64 v[14:15], v[14:15], v[12:13]
	v_cmp_eq_f32_e32 vcc_lo, v21, v23
	v_mov_b32_e32 v23, v21
	s_delay_alu instid0(VALU_DEP_3)
	v_dual_cndmask_b32 v15, v13, v15 :: v_dual_cndmask_b32 v14, v12, v14
.LBB0_11:                               ;   in Loop: Header=BB0_4 Depth=1
	s_or_b32 exec_lo, exec_lo, s4
	s_delay_alu instid0(VALU_DEP_1) | instskip(NEXT) | instid1(VALU_DEP_3)
	v_mov_b64_e32 v[12:13], v[14:15]
	v_dual_mov_b32 v21, v23 :: v_dual_mov_b32 v22, v23
.LBB0_12:                               ;   in Loop: Header=BB0_4 Depth=1
	s_or_b32 exec_lo, exec_lo, s5
	ds_bpermute_b32 v14, v16, v12
	ds_bpermute_b32 v15, v16, v13
	;; [unrolled: 1-line block ×3, first 2 shown]
	s_mov_b32 s5, exec_lo
	s_wait_dscnt 0x1
	v_cmpx_ne_u64_e32 0, v[14:15]
	s_cbranch_execz .LBB0_16
; %bb.13:                               ;   in Loop: Header=BB0_4 Depth=1
	v_cmp_ne_u64_e32 vcc_lo, 0, v[12:13]
	s_wait_dscnt 0x0
	v_cmp_nlt_f32_e64 s4, v22, v23
	v_mov_b32_e32 v24, v23
	s_and_b32 s15, vcc_lo, s4
	s_delay_alu instid0(SALU_CYCLE_1)
	s_and_saveexec_b32 s4, s15
	s_cbranch_execz .LBB0_15
; %bb.14:                               ;   in Loop: Header=BB0_4 Depth=1
	v_min_i64 v[14:15], v[14:15], v[12:13]
	v_cmp_eq_f32_e32 vcc_lo, v22, v23
	v_dual_mov_b32 v24, v22 :: v_dual_mov_b32 v23, v21
	s_delay_alu instid0(VALU_DEP_3)
	v_dual_cndmask_b32 v14, v12, v14 :: v_dual_cndmask_b32 v15, v13, v15
.LBB0_15:                               ;   in Loop: Header=BB0_4 Depth=1
	s_or_b32 exec_lo, exec_lo, s4
	s_delay_alu instid0(VALU_DEP_1) | instskip(NEXT) | instid1(VALU_DEP_2)
	v_mov_b64_e32 v[12:13], v[14:15]
	v_dual_mov_b32 v21, v23 :: v_dual_mov_b32 v22, v24
.LBB0_16:                               ;   in Loop: Header=BB0_4 Depth=1
	s_or_b32 exec_lo, exec_lo, s5
	ds_bpermute_b32 v14, v17, v12
	ds_bpermute_b32 v15, v17, v13
	s_wait_dscnt 0x2
	ds_bpermute_b32 v23, v17, v21
	s_mov_b32 s5, exec_lo
	s_wait_dscnt 0x1
	v_cmpx_ne_u64_e32 0, v[14:15]
	s_cbranch_execz .LBB0_20
; %bb.17:                               ;   in Loop: Header=BB0_4 Depth=1
	v_cmp_ne_u64_e32 vcc_lo, 0, v[12:13]
	s_wait_dscnt 0x0
	v_cmp_nlt_f32_e64 s4, v22, v23
	v_mov_b32_e32 v24, v23
	s_and_b32 s15, vcc_lo, s4
	s_delay_alu instid0(SALU_CYCLE_1)
	s_and_saveexec_b32 s4, s15
	s_cbranch_execz .LBB0_19
; %bb.18:                               ;   in Loop: Header=BB0_4 Depth=1
	v_min_i64 v[14:15], v[14:15], v[12:13]
	v_cmp_eq_f32_e32 vcc_lo, v22, v23
	v_dual_mov_b32 v24, v22 :: v_dual_mov_b32 v23, v21
	s_delay_alu instid0(VALU_DEP_3)
	v_dual_cndmask_b32 v14, v12, v14 :: v_dual_cndmask_b32 v15, v13, v15
.LBB0_19:                               ;   in Loop: Header=BB0_4 Depth=1
	s_or_b32 exec_lo, exec_lo, s4
	s_delay_alu instid0(VALU_DEP_1) | instskip(NEXT) | instid1(VALU_DEP_2)
	v_mov_b64_e32 v[12:13], v[14:15]
	v_dual_mov_b32 v21, v23 :: v_dual_mov_b32 v22, v24
.LBB0_20:                               ;   in Loop: Header=BB0_4 Depth=1
	s_or_b32 exec_lo, exec_lo, s5
	ds_bpermute_b32 v14, v18, v12
	ds_bpermute_b32 v15, v18, v13
	s_wait_dscnt 0x2
	ds_bpermute_b32 v23, v18, v21
	s_mov_b32 s5, exec_lo
	s_wait_dscnt 0x1
	v_cmpx_ne_u64_e32 0, v[14:15]
	s_cbranch_execz .LBB0_24
; %bb.21:                               ;   in Loop: Header=BB0_4 Depth=1
	v_cmp_ne_u64_e32 vcc_lo, 0, v[12:13]
	s_wait_dscnt 0x0
	v_cmp_nlt_f32_e64 s4, v22, v23
	v_mov_b32_e32 v24, v23
	s_and_b32 s15, vcc_lo, s4
	s_delay_alu instid0(SALU_CYCLE_1)
	s_and_saveexec_b32 s4, s15
	s_cbranch_execz .LBB0_23
; %bb.22:                               ;   in Loop: Header=BB0_4 Depth=1
	v_min_i64 v[14:15], v[14:15], v[12:13]
	v_cmp_eq_f32_e32 vcc_lo, v22, v23
	v_dual_mov_b32 v24, v22 :: v_dual_mov_b32 v23, v21
	s_delay_alu instid0(VALU_DEP_3)
	v_dual_cndmask_b32 v14, v12, v14 :: v_dual_cndmask_b32 v15, v13, v15
.LBB0_23:                               ;   in Loop: Header=BB0_4 Depth=1
	s_or_b32 exec_lo, exec_lo, s4
	s_delay_alu instid0(VALU_DEP_1) | instskip(NEXT) | instid1(VALU_DEP_2)
	v_mov_b64_e32 v[12:13], v[14:15]
	v_dual_mov_b32 v21, v23 :: v_dual_mov_b32 v22, v24
.LBB0_24:                               ;   in Loop: Header=BB0_4 Depth=1
	s_or_b32 exec_lo, exec_lo, s5
	ds_bpermute_b32 v14, v19, v12
	ds_bpermute_b32 v15, v19, v13
	;; [unrolled: 1-line block ×3, first 2 shown]
	s_mov_b32 s15, exec_lo
	s_wait_dscnt 0x1
	v_cmpx_ne_u64_e32 0, v[14:15]
	s_cbranch_execz .LBB0_26
; %bb.25:                               ;   in Loop: Header=BB0_4 Depth=1
	v_min_i64 v[24:25], v[14:15], v[12:13]
	s_wait_dscnt 0x0
	v_cmp_eq_f32_e32 vcc_lo, v22, v21
	v_cmp_eq_u64_e64 s4, 0, v[12:13]
	v_cmp_lt_f32_e64 s5, v22, v21
	s_delay_alu instid0(VALU_DEP_4)
	v_dual_cndmask_b32 v12, v12, v24 :: v_dual_cndmask_b32 v13, v13, v25
	s_or_b32 vcc_lo, s4, s5
	s_delay_alu instid0(VALU_DEP_1) | instid1(SALU_CYCLE_1)
	v_dual_cndmask_b32 v22, v22, v21, vcc_lo :: v_dual_cndmask_b32 v12, v12, v14, vcc_lo
	s_delay_alu instid0(VALU_DEP_2)
	v_cndmask_b32_e32 v13, v13, v15, vcc_lo
.LBB0_26:                               ;   in Loop: Header=BB0_4 Depth=1
	s_or_b32 exec_lo, exec_lo, s15
	s_and_saveexec_b32 s4, s3
	s_cbranch_execz .LBB0_28
; %bb.27:                               ;   in Loop: Header=BB0_4 Depth=1
	ds_store_b64 v20, v[12:13]
	ds_store_b32 v20, v22 offset:8
.LBB0_28:                               ;   in Loop: Header=BB0_4 Depth=1
	s_or_b32 exec_lo, exec_lo, s4
	v_mov_b64_e32 v[12:13], 0
	s_wait_dscnt 0x0
	v_mov_b32_e32 v21, 0
	s_barrier_signal -1
	s_barrier_wait -1
	s_and_saveexec_b32 s4, s2
	s_cbranch_execz .LBB0_30
; %bb.29:                               ;   in Loop: Header=BB0_4 Depth=1
	ds_load_b64 v[12:13], v1
	ds_load_b32 v21, v1 offset:8
.LBB0_30:                               ;   in Loop: Header=BB0_4 Depth=1
	s_or_b32 exec_lo, exec_lo, s4
	s_and_saveexec_b32 s15, s2
	s_cbranch_execz .LBB0_50
; %bb.31:                               ;   in Loop: Header=BB0_4 Depth=1
	s_wait_dscnt 0x1
	ds_bpermute_b32 v14, v5, v12
	ds_bpermute_b32 v15, v5, v13
	s_wait_dscnt 0x2
	ds_bpermute_b32 v23, v5, v21
	v_mov_b32_e32 v22, v21
	s_mov_b32 s5, exec_lo
	s_wait_dscnt 0x1
	v_cmpx_ne_u64_e32 0, v[14:15]
	s_cbranch_execz .LBB0_35
; %bb.32:                               ;   in Loop: Header=BB0_4 Depth=1
	v_cmp_ne_u64_e32 vcc_lo, 0, v[12:13]
	s_wait_dscnt 0x0
	v_cmp_nlt_f32_e64 s4, v21, v23
	s_and_b32 s17, vcc_lo, s4
	s_delay_alu instid0(SALU_CYCLE_1)
	s_and_saveexec_b32 s4, s17
	s_cbranch_execz .LBB0_34
; %bb.33:                               ;   in Loop: Header=BB0_4 Depth=1
	v_min_i64 v[14:15], v[14:15], v[12:13]
	v_cmp_eq_f32_e32 vcc_lo, v21, v23
	v_mov_b32_e32 v23, v21
	s_delay_alu instid0(VALU_DEP_3)
	v_dual_cndmask_b32 v15, v13, v15 :: v_dual_cndmask_b32 v14, v12, v14
.LBB0_34:                               ;   in Loop: Header=BB0_4 Depth=1
	s_or_b32 exec_lo, exec_lo, s4
	s_delay_alu instid0(VALU_DEP_1) | instskip(NEXT) | instid1(VALU_DEP_3)
	v_mov_b64_e32 v[12:13], v[14:15]
	v_dual_mov_b32 v21, v23 :: v_dual_mov_b32 v22, v23
.LBB0_35:                               ;   in Loop: Header=BB0_4 Depth=1
	s_or_b32 exec_lo, exec_lo, s5
	ds_bpermute_b32 v14, v16, v12
	ds_bpermute_b32 v15, v16, v13
	s_wait_dscnt 0x2
	ds_bpermute_b32 v23, v16, v21
	s_mov_b32 s5, exec_lo
	s_wait_dscnt 0x1
	v_cmpx_ne_u64_e32 0, v[14:15]
	s_cbranch_execz .LBB0_39
; %bb.36:                               ;   in Loop: Header=BB0_4 Depth=1
	v_cmp_ne_u64_e32 vcc_lo, 0, v[12:13]
	s_wait_dscnt 0x0
	v_cmp_nlt_f32_e64 s4, v22, v23
	v_mov_b32_e32 v24, v23
	s_and_b32 s17, vcc_lo, s4
	s_delay_alu instid0(SALU_CYCLE_1)
	s_and_saveexec_b32 s4, s17
	s_cbranch_execz .LBB0_38
; %bb.37:                               ;   in Loop: Header=BB0_4 Depth=1
	v_min_i64 v[14:15], v[14:15], v[12:13]
	v_cmp_eq_f32_e32 vcc_lo, v22, v23
	v_dual_mov_b32 v24, v22 :: v_dual_mov_b32 v23, v21
	s_delay_alu instid0(VALU_DEP_3)
	v_dual_cndmask_b32 v14, v12, v14 :: v_dual_cndmask_b32 v15, v13, v15
.LBB0_38:                               ;   in Loop: Header=BB0_4 Depth=1
	s_or_b32 exec_lo, exec_lo, s4
	s_delay_alu instid0(VALU_DEP_1) | instskip(NEXT) | instid1(VALU_DEP_2)
	v_mov_b64_e32 v[12:13], v[14:15]
	v_dual_mov_b32 v21, v23 :: v_dual_mov_b32 v22, v24
.LBB0_39:                               ;   in Loop: Header=BB0_4 Depth=1
	s_or_b32 exec_lo, exec_lo, s5
	ds_bpermute_b32 v14, v17, v12
	ds_bpermute_b32 v15, v17, v13
	s_wait_dscnt 0x2
	ds_bpermute_b32 v23, v17, v21
	s_mov_b32 s5, exec_lo
	s_wait_dscnt 0x1
	v_cmpx_ne_u64_e32 0, v[14:15]
	s_cbranch_execz .LBB0_43
; %bb.40:                               ;   in Loop: Header=BB0_4 Depth=1
	v_cmp_ne_u64_e32 vcc_lo, 0, v[12:13]
	s_wait_dscnt 0x0
	v_cmp_nlt_f32_e64 s4, v22, v23
	v_mov_b32_e32 v24, v23
	s_and_b32 s17, vcc_lo, s4
	s_delay_alu instid0(SALU_CYCLE_1)
	s_and_saveexec_b32 s4, s17
	s_cbranch_execz .LBB0_42
; %bb.41:                               ;   in Loop: Header=BB0_4 Depth=1
	v_min_i64 v[14:15], v[14:15], v[12:13]
	v_cmp_eq_f32_e32 vcc_lo, v22, v23
	v_dual_mov_b32 v24, v22 :: v_dual_mov_b32 v23, v21
	s_delay_alu instid0(VALU_DEP_3)
	v_dual_cndmask_b32 v14, v12, v14 :: v_dual_cndmask_b32 v15, v13, v15
.LBB0_42:                               ;   in Loop: Header=BB0_4 Depth=1
	s_or_b32 exec_lo, exec_lo, s4
	s_delay_alu instid0(VALU_DEP_1) | instskip(NEXT) | instid1(VALU_DEP_2)
	v_mov_b64_e32 v[12:13], v[14:15]
	v_dual_mov_b32 v21, v23 :: v_dual_mov_b32 v22, v24
.LBB0_43:                               ;   in Loop: Header=BB0_4 Depth=1
	;; [unrolled: 30-line block ×3, first 2 shown]
	s_or_b32 exec_lo, exec_lo, s5
	ds_bpermute_b32 v14, v19, v12
	ds_bpermute_b32 v15, v19, v13
	;; [unrolled: 1-line block ×3, first 2 shown]
	s_mov_b32 s17, exec_lo
	s_wait_dscnt 0x1
	v_cmpx_ne_u64_e32 0, v[14:15]
	s_cbranch_execz .LBB0_49
; %bb.48:                               ;   in Loop: Header=BB0_4 Depth=1
	v_min_i64 v[24:25], v[14:15], v[12:13]
	s_wait_dscnt 0x0
	v_cmp_eq_f32_e32 vcc_lo, v22, v21
	v_cmp_eq_u64_e64 s4, 0, v[12:13]
	v_cmp_lt_f32_e64 s5, v22, v21
	s_delay_alu instid0(VALU_DEP_4)
	v_dual_cndmask_b32 v12, v12, v24 :: v_dual_cndmask_b32 v13, v13, v25
	s_or_b32 vcc_lo, s4, s5
	s_delay_alu instid0(VALU_DEP_1) | instid1(SALU_CYCLE_1)
	v_dual_cndmask_b32 v22, v22, v21, vcc_lo :: v_dual_cndmask_b32 v12, v12, v14, vcc_lo
	s_delay_alu instid0(VALU_DEP_2)
	v_cndmask_b32_e32 v13, v13, v15, vcc_lo
.LBB0_49:                               ;   in Loop: Header=BB0_4 Depth=1
	s_or_b32 exec_lo, exec_lo, s17
	s_wait_dscnt 0x0
	s_delay_alu instid0(VALU_DEP_2)
	v_mov_b32_e32 v21, v22
.LBB0_50:                               ;   in Loop: Header=BB0_4 Depth=1
	s_or_b32 exec_lo, exec_lo, s15
	s_wait_dscnt 0x1
	v_cmp_ne_u64_e32 vcc_lo, 0, v[12:13]
	s_and_b32 s4, s14, vcc_lo
	s_delay_alu instid0(SALU_CYCLE_1)
	s_and_saveexec_b32 s5, s4
	s_cbranch_execz .LBB0_3
; %bb.51:                               ;   in Loop: Header=BB0_4 Depth=1
	v_cmp_ne_u64_e32 vcc_lo, 0, v[2:3]
	s_wait_dscnt 0x0
	v_cmp_ngt_f32_e64 s4, v21, v4
	v_mov_b32_e32 v14, v21
	s_and_b32 s15, vcc_lo, s4
	s_delay_alu instid0(SALU_CYCLE_1)
	s_and_saveexec_b32 s4, s15
	s_cbranch_execz .LBB0_2
; %bb.52:                               ;   in Loop: Header=BB0_4 Depth=1
	v_min_i64 v[12:13], v[12:13], v[2:3]
	v_cmp_eq_f32_e32 vcc_lo, v4, v21
	s_delay_alu instid0(VALU_DEP_2) | instskip(NEXT) | instid1(VALU_DEP_3)
	v_dual_mov_b32 v14, v4 :: v_dual_cndmask_b32 v13, v3, v13
	v_cndmask_b32_e32 v12, v2, v12, vcc_lo
	s_branch .LBB0_2
.LBB0_53:
	v_mov_b64_e32 v[2:3], 0
.LBB0_54:
	s_mov_b32 s3, 0
	s_mov_b32 s2, exec_lo
	v_cmpx_eq_u32_e32 0, v0
	s_cbranch_execz .LBB0_56
; %bb.55:
	s_load_b32 s2, s[0:1], 0x30
	s_mov_b32 s17, s3
	v_mov_b32_e32 v0, 0
	s_wait_kmcnt 0x0
	s_mul_u64 s[0:1], s[2:3], s[18:19]
	s_lshl_b64 s[2:3], s[16:17], 4
	s_lshl_b64 s[0:1], s[0:1], 4
	s_delay_alu instid0(SALU_CYCLE_1) | instskip(NEXT) | instid1(SALU_CYCLE_1)
	s_add_nc_u64 s[0:1], s[6:7], s[0:1]
	s_add_nc_u64 s[0:1], s[0:1], s[2:3]
	global_store_b96 v0, v[2:4], s[0:1]
.LBB0_56:
	s_endpgm
	.section	.rodata,"a",@progbits
	.p2align	6, 0x0
	.amdhsa_kernel _ZL35rocblas_iamax_iamin_kernel_part1_64ILi1024E26rocblas_fetch_amax_amin_64IfE22rocblas_reduce_amax_64PKf24rocblas_index_64_value_tIfEEvlT2_lllPT3_
		.amdhsa_group_segment_fixed_size 512
		.amdhsa_private_segment_fixed_size 0
		.amdhsa_kernarg_size 304
		.amdhsa_user_sgpr_count 2
		.amdhsa_user_sgpr_dispatch_ptr 0
		.amdhsa_user_sgpr_queue_ptr 0
		.amdhsa_user_sgpr_kernarg_segment_ptr 1
		.amdhsa_user_sgpr_dispatch_id 0
		.amdhsa_user_sgpr_kernarg_preload_length 0
		.amdhsa_user_sgpr_kernarg_preload_offset 0
		.amdhsa_user_sgpr_private_segment_size 0
		.amdhsa_wavefront_size32 1
		.amdhsa_uses_dynamic_stack 0
		.amdhsa_enable_private_segment 0
		.amdhsa_system_sgpr_workgroup_id_x 1
		.amdhsa_system_sgpr_workgroup_id_y 0
		.amdhsa_system_sgpr_workgroup_id_z 1
		.amdhsa_system_sgpr_workgroup_info 0
		.amdhsa_system_vgpr_workitem_id 0
		.amdhsa_next_free_vgpr 26
		.amdhsa_next_free_sgpr 22
		.amdhsa_named_barrier_count 0
		.amdhsa_reserve_vcc 1
		.amdhsa_float_round_mode_32 0
		.amdhsa_float_round_mode_16_64 0
		.amdhsa_float_denorm_mode_32 3
		.amdhsa_float_denorm_mode_16_64 3
		.amdhsa_fp16_overflow 0
		.amdhsa_memory_ordered 1
		.amdhsa_forward_progress 1
		.amdhsa_inst_pref_size 17
		.amdhsa_round_robin_scheduling 0
		.amdhsa_exception_fp_ieee_invalid_op 0
		.amdhsa_exception_fp_denorm_src 0
		.amdhsa_exception_fp_ieee_div_zero 0
		.amdhsa_exception_fp_ieee_overflow 0
		.amdhsa_exception_fp_ieee_underflow 0
		.amdhsa_exception_fp_ieee_inexact 0
		.amdhsa_exception_int_div_zero 0
	.end_amdhsa_kernel
	.section	.text._ZL35rocblas_iamax_iamin_kernel_part1_64ILi1024E26rocblas_fetch_amax_amin_64IfE22rocblas_reduce_amax_64PKf24rocblas_index_64_value_tIfEEvlT2_lllPT3_,"axG",@progbits,_ZL35rocblas_iamax_iamin_kernel_part1_64ILi1024E26rocblas_fetch_amax_amin_64IfE22rocblas_reduce_amax_64PKf24rocblas_index_64_value_tIfEEvlT2_lllPT3_,comdat
.Lfunc_end0:
	.size	_ZL35rocblas_iamax_iamin_kernel_part1_64ILi1024E26rocblas_fetch_amax_amin_64IfE22rocblas_reduce_amax_64PKf24rocblas_index_64_value_tIfEEvlT2_lllPT3_, .Lfunc_end0-_ZL35rocblas_iamax_iamin_kernel_part1_64ILi1024E26rocblas_fetch_amax_amin_64IfE22rocblas_reduce_amax_64PKf24rocblas_index_64_value_tIfEEvlT2_lllPT3_
                                        ; -- End function
	.set _ZL35rocblas_iamax_iamin_kernel_part1_64ILi1024E26rocblas_fetch_amax_amin_64IfE22rocblas_reduce_amax_64PKf24rocblas_index_64_value_tIfEEvlT2_lllPT3_.num_vgpr, 26
	.set _ZL35rocblas_iamax_iamin_kernel_part1_64ILi1024E26rocblas_fetch_amax_amin_64IfE22rocblas_reduce_amax_64PKf24rocblas_index_64_value_tIfEEvlT2_lllPT3_.num_agpr, 0
	.set _ZL35rocblas_iamax_iamin_kernel_part1_64ILi1024E26rocblas_fetch_amax_amin_64IfE22rocblas_reduce_amax_64PKf24rocblas_index_64_value_tIfEEvlT2_lllPT3_.numbered_sgpr, 22
	.set _ZL35rocblas_iamax_iamin_kernel_part1_64ILi1024E26rocblas_fetch_amax_amin_64IfE22rocblas_reduce_amax_64PKf24rocblas_index_64_value_tIfEEvlT2_lllPT3_.num_named_barrier, 0
	.set _ZL35rocblas_iamax_iamin_kernel_part1_64ILi1024E26rocblas_fetch_amax_amin_64IfE22rocblas_reduce_amax_64PKf24rocblas_index_64_value_tIfEEvlT2_lllPT3_.private_seg_size, 0
	.set _ZL35rocblas_iamax_iamin_kernel_part1_64ILi1024E26rocblas_fetch_amax_amin_64IfE22rocblas_reduce_amax_64PKf24rocblas_index_64_value_tIfEEvlT2_lllPT3_.uses_vcc, 1
	.set _ZL35rocblas_iamax_iamin_kernel_part1_64ILi1024E26rocblas_fetch_amax_amin_64IfE22rocblas_reduce_amax_64PKf24rocblas_index_64_value_tIfEEvlT2_lllPT3_.uses_flat_scratch, 0
	.set _ZL35rocblas_iamax_iamin_kernel_part1_64ILi1024E26rocblas_fetch_amax_amin_64IfE22rocblas_reduce_amax_64PKf24rocblas_index_64_value_tIfEEvlT2_lllPT3_.has_dyn_sized_stack, 0
	.set _ZL35rocblas_iamax_iamin_kernel_part1_64ILi1024E26rocblas_fetch_amax_amin_64IfE22rocblas_reduce_amax_64PKf24rocblas_index_64_value_tIfEEvlT2_lllPT3_.has_recursion, 0
	.set _ZL35rocblas_iamax_iamin_kernel_part1_64ILi1024E26rocblas_fetch_amax_amin_64IfE22rocblas_reduce_amax_64PKf24rocblas_index_64_value_tIfEEvlT2_lllPT3_.has_indirect_call, 0
	.section	.AMDGPU.csdata,"",@progbits
; Kernel info:
; codeLenInByte = 2084
; TotalNumSgprs: 24
; NumVgprs: 26
; ScratchSize: 0
; MemoryBound: 0
; FloatMode: 240
; IeeeMode: 1
; LDSByteSize: 512 bytes/workgroup (compile time only)
; SGPRBlocks: 0
; VGPRBlocks: 1
; NumSGPRsForWavesPerEU: 24
; NumVGPRsForWavesPerEU: 26
; NamedBarCnt: 0
; Occupancy: 16
; WaveLimiterHint : 0
; COMPUTE_PGM_RSRC2:SCRATCH_EN: 0
; COMPUTE_PGM_RSRC2:USER_SGPR: 2
; COMPUTE_PGM_RSRC2:TRAP_HANDLER: 0
; COMPUTE_PGM_RSRC2:TGID_X_EN: 1
; COMPUTE_PGM_RSRC2:TGID_Y_EN: 0
; COMPUTE_PGM_RSRC2:TGID_Z_EN: 1
; COMPUTE_PGM_RSRC2:TIDIG_COMP_CNT: 0
	.section	.text._ZL35rocblas_iamax_iamin_kernel_part2_64ILi1024E22rocblas_reduce_amax_6424rocblas_index_64_value_tIfElEviPT1_PT2_,"axG",@progbits,_ZL35rocblas_iamax_iamin_kernel_part2_64ILi1024E22rocblas_reduce_amax_6424rocblas_index_64_value_tIfElEviPT1_PT2_,comdat
	.globl	_ZL35rocblas_iamax_iamin_kernel_part2_64ILi1024E22rocblas_reduce_amax_6424rocblas_index_64_value_tIfElEviPT1_PT2_ ; -- Begin function _ZL35rocblas_iamax_iamin_kernel_part2_64ILi1024E22rocblas_reduce_amax_6424rocblas_index_64_value_tIfElEviPT1_PT2_
	.p2align	8
	.type	_ZL35rocblas_iamax_iamin_kernel_part2_64ILi1024E22rocblas_reduce_amax_6424rocblas_index_64_value_tIfElEviPT1_PT2_,@function
_ZL35rocblas_iamax_iamin_kernel_part2_64ILi1024E22rocblas_reduce_amax_6424rocblas_index_64_value_tIfElEviPT1_PT2_: ; @_ZL35rocblas_iamax_iamin_kernel_part2_64ILi1024E22rocblas_reduce_amax_6424rocblas_index_64_value_tIfElEviPT1_PT2_
; %bb.0:
	s_clause 0x1
	s_load_b32 s2, s[0:1], 0x0
	s_load_b128 s[4:7], s[0:1], 0x8
	v_mov_b64_e32 v[2:3], 0
	s_getreg_b32 s8, hwreg(HW_REG_IB_STS2, 6, 4)
	s_mov_b32 s9, exec_lo
	s_wait_kmcnt 0x0
	v_cmpx_gt_i32_e64 s2, v0
	s_cbranch_execz .LBB1_10
; %bb.1:
	s_bfe_u32 s0, ttmp6, 0x4000c
	s_and_b32 s1, ttmp6, 15
	s_add_co_i32 s0, s0, 1
	s_mov_b32 s3, 0
	s_mul_i32 s0, ttmp9, s0
	v_lshlrev_b32_e32 v6, 4, v0
	s_add_co_i32 s1, s1, s0
	s_cmp_eq_u32 s8, 0
	v_or_b32_e32 v1, 0x400, v0
	s_cselect_b32 s0, ttmp9, s1
	s_mov_b32 s1, s3
	s_delay_alu instid0(SALU_CYCLE_1) | instskip(NEXT) | instid1(SALU_CYCLE_1)
	s_mul_u64 s[0:1], s[2:3], s[0:1]
	s_lshl_b64 s[0:1], s[0:1], 4
	s_delay_alu instid0(SALU_CYCLE_1)
	s_add_nc_u64 s[0:1], s[4:5], s[0:1]
	s_mov_b32 s4, exec_lo
	global_load_b96 v[2:4], v6, s[0:1]
	s_wait_xcnt 0x0
	v_cmpx_gt_u32_e64 s2, v1
	s_cbranch_execz .LBB1_9
; %bb.2:
	v_mov_b32_e32 v7, 0
	s_delay_alu instid0(VALU_DEP_1) | instskip(NEXT) | instid1(VALU_DEP_1)
	v_add_nc_u64_e32 v[6:7], s[0:1], v[6:7]
	v_add_nc_u64_e32 v[6:7], 0x4000, v[6:7]
	s_branch .LBB1_5
.LBB1_3:                                ;   in Loop: Header=BB1_5 Depth=1
	s_or_b32 exec_lo, exec_lo, s0
	s_delay_alu instid0(VALU_DEP_1)
	v_mov_b64_e32 v[2:3], v[8:9]
	v_mov_b32_e32 v4, v5
.LBB1_4:                                ;   in Loop: Header=BB1_5 Depth=1
	s_or_b32 exec_lo, exec_lo, s1
	v_add_nc_u32_e32 v1, 0x400, v1
	v_add_nc_u64_e32 v[6:7], 0x4000, v[6:7]
	s_delay_alu instid0(VALU_DEP_2) | instskip(SKIP_1) | instid1(SALU_CYCLE_1)
	v_cmp_le_i32_e32 vcc_lo, s2, v1
	s_or_b32 s3, vcc_lo, s3
	s_and_not1_b32 exec_lo, exec_lo, s3
	s_cbranch_execz .LBB1_8
.LBB1_5:                                ; =>This Inner Loop Header: Depth=1
	global_load_b64 v[8:9], v[6:7], off
	s_mov_b32 s1, exec_lo
	s_wait_loadcnt 0x0
	v_cmpx_ne_u64_e32 0, v[8:9]
	s_cbranch_execz .LBB1_4
; %bb.6:                                ;   in Loop: Header=BB1_5 Depth=1
	global_load_b32 v5, v[6:7], off offset:8
	v_cmp_ne_u64_e32 vcc_lo, 0, v[2:3]
	s_wait_loadcnt 0x0
	v_cmp_ngt_f32_e64 s0, v5, v4
	s_and_b32 s5, vcc_lo, s0
	s_delay_alu instid0(SALU_CYCLE_1)
	s_and_saveexec_b32 s0, s5
	s_cbranch_execz .LBB1_3
; %bb.7:                                ;   in Loop: Header=BB1_5 Depth=1
	v_min_i64 v[8:9], v[8:9], v[2:3]
	v_cmp_eq_f32_e32 vcc_lo, v4, v5
	s_delay_alu instid0(VALU_DEP_2) | instskip(NEXT) | instid1(VALU_DEP_3)
	v_dual_mov_b32 v5, v4 :: v_dual_cndmask_b32 v9, v3, v9, vcc_lo
	v_cndmask_b32_e32 v8, v2, v8, vcc_lo
	s_branch .LBB1_3
.LBB1_8:
	s_or_b32 exec_lo, exec_lo, s3
.LBB1_9:
	s_delay_alu instid0(SALU_CYCLE_1)
	s_or_b32 exec_lo, exec_lo, s4
.LBB1_10:
	s_delay_alu instid0(SALU_CYCLE_1) | instskip(SKIP_2) | instid1(VALU_DEP_2)
	s_or_b32 exec_lo, exec_lo, s9
	v_and_b32_e32 v12, 31, v0
	v_cmp_gt_u32_e32 vcc_lo, 32, v0
	v_lshlrev_b32_e32 v5, 4, v12
	s_and_saveexec_b32 s0, vcc_lo
	s_cbranch_execz .LBB1_12
; %bb.11:
	v_mov_b64_e32 v[6:7], 0
	v_mov_b32_e32 v1, 0
	ds_store_b64 v5, v[6:7]
	ds_store_b32 v5, v1 offset:8
.LBB1_12:
	s_or_b32 exec_lo, exec_lo, s0
	v_mbcnt_lo_u32_b32 v11, -1, 0
	s_wait_loadcnt 0x0
	v_mov_b32_e32 v13, v4
	s_mov_b32 s2, exec_lo
	s_wait_dscnt 0x0
	s_barrier_signal -1
	v_lshl_or_b32 v1, v11, 2, 64
	s_barrier_wait -1
	ds_bpermute_b32 v6, v1, v2
	ds_bpermute_b32 v7, v1, v3
	;; [unrolled: 1-line block ×3, first 2 shown]
	s_wait_dscnt 0x1
	v_cmpx_ne_u64_e32 0, v[6:7]
	s_cbranch_execz .LBB1_16
; %bb.13:
	v_cmp_ne_u64_e64 s0, 0, v[2:3]
	s_wait_dscnt 0x0
	v_cmp_nlt_f32_e64 s1, v4, v8
	v_mov_b32_e32 v13, v8
	s_and_b32 s0, s0, s1
	s_delay_alu instid0(SALU_CYCLE_1)
	s_and_saveexec_b32 s1, s0
	s_cbranch_execz .LBB1_15
; %bb.14:
	v_min_i64 v[6:7], v[6:7], v[2:3]
	v_cmp_eq_f32_e64 s0, v4, v8
	v_dual_mov_b32 v13, v4 :: v_dual_mov_b32 v8, v4
	s_delay_alu instid0(VALU_DEP_2)
	v_dual_cndmask_b32 v6, v2, v6, s0 :: v_dual_cndmask_b32 v7, v3, v7, s0
.LBB1_15:
	s_or_b32 exec_lo, exec_lo, s1
	s_delay_alu instid0(VALU_DEP_1) | instskip(NEXT) | instid1(VALU_DEP_3)
	v_mov_b64_e32 v[2:3], v[6:7]
	v_mov_b32_e32 v4, v8
.LBB1_16:
	s_or_b32 exec_lo, exec_lo, s2
	v_cmp_gt_u32_e64 s0, 24, v11
	s_mov_b32 s2, exec_lo
	v_cndmask_b32_e64 v6, 0, 8, s0
	s_wait_dscnt 0x0
	s_delay_alu instid0(VALU_DEP_1)
	v_add_lshl_u32 v8, v6, v11, 2
	ds_bpermute_b32 v6, v8, v2
	ds_bpermute_b32 v7, v8, v3
	ds_bpermute_b32 v9, v8, v4
	s_wait_dscnt 0x1
	v_cmpx_ne_u64_e32 0, v[6:7]
	s_cbranch_execz .LBB1_20
; %bb.17:
	v_cmp_ne_u64_e64 s0, 0, v[2:3]
	s_wait_dscnt 0x0
	v_cmp_nlt_f32_e64 s1, v13, v9
	v_mov_b32_e32 v10, v9
	s_and_b32 s0, s0, s1
	s_delay_alu instid0(SALU_CYCLE_1)
	s_and_saveexec_b32 s1, s0
	s_cbranch_execz .LBB1_19
; %bb.18:
	v_min_i64 v[6:7], v[6:7], v[2:3]
	v_cmp_eq_f32_e64 s0, v13, v9
	v_dual_mov_b32 v10, v13 :: v_dual_mov_b32 v9, v4
	s_delay_alu instid0(VALU_DEP_2)
	v_dual_cndmask_b32 v6, v2, v6, s0 :: v_dual_cndmask_b32 v7, v3, v7, s0
.LBB1_19:
	s_or_b32 exec_lo, exec_lo, s1
	s_delay_alu instid0(VALU_DEP_1) | instskip(NEXT) | instid1(VALU_DEP_2)
	v_mov_b64_e32 v[2:3], v[6:7]
	v_dual_mov_b32 v4, v9 :: v_dual_mov_b32 v13, v10
.LBB1_20:
	s_or_b32 exec_lo, exec_lo, s2
	v_cmp_gt_u32_e64 s0, 28, v11
	s_mov_b32 s2, exec_lo
	v_cndmask_b32_e64 v6, 0, 4, s0
	s_wait_dscnt 0x0
	s_delay_alu instid0(VALU_DEP_1)
	v_add_lshl_u32 v9, v6, v11, 2
	ds_bpermute_b32 v6, v9, v2
	ds_bpermute_b32 v7, v9, v3
	ds_bpermute_b32 v10, v9, v4
	s_wait_dscnt 0x1
	v_cmpx_ne_u64_e32 0, v[6:7]
	s_cbranch_execz .LBB1_24
; %bb.21:
	v_cmp_ne_u64_e64 s0, 0, v[2:3]
	s_wait_dscnt 0x0
	v_cmp_nlt_f32_e64 s1, v13, v10
	v_mov_b32_e32 v14, v10
	s_and_b32 s0, s0, s1
	s_delay_alu instid0(SALU_CYCLE_1)
	s_and_saveexec_b32 s1, s0
	s_cbranch_execz .LBB1_23
; %bb.22:
	v_min_i64 v[6:7], v[6:7], v[2:3]
	v_cmp_eq_f32_e64 s0, v13, v10
	v_dual_mov_b32 v14, v13 :: v_dual_mov_b32 v10, v4
	s_delay_alu instid0(VALU_DEP_2)
	v_dual_cndmask_b32 v6, v2, v6, s0 :: v_dual_cndmask_b32 v7, v3, v7, s0
.LBB1_23:
	s_or_b32 exec_lo, exec_lo, s1
	s_delay_alu instid0(VALU_DEP_1) | instskip(NEXT) | instid1(VALU_DEP_2)
	v_mov_b64_e32 v[2:3], v[6:7]
	v_dual_mov_b32 v4, v10 :: v_dual_mov_b32 v13, v14
.LBB1_24:
	;; [unrolled: 34-line block ×3, first 2 shown]
	s_or_b32 exec_lo, exec_lo, s2
	v_cmp_ne_u32_e64 s0, 31, v11
	s_mov_b32 s3, exec_lo
	v_add_co_ci_u32_e64 v6, null, 0, v11, s0
	s_delay_alu instid0(VALU_DEP_1)
	v_lshlrev_b32_e32 v11, 2, v6
	ds_bpermute_b32 v6, v11, v2
	ds_bpermute_b32 v7, v11, v3
	;; [unrolled: 1-line block ×3, first 2 shown]
	s_wait_dscnt 0x1
	v_cmpx_ne_u64_e32 0, v[6:7]
	s_cbranch_execz .LBB1_30
; %bb.29:
	v_min_i64 v[14:15], v[6:7], v[2:3]
	s_wait_dscnt 0x0
	v_cmp_eq_f32_e64 s0, v13, v4
	v_cmp_eq_u64_e64 s1, 0, v[2:3]
	v_cmp_lt_f32_e64 s2, v13, v4
	s_delay_alu instid0(VALU_DEP_3)
	v_dual_cndmask_b32 v2, v2, v14, s0 :: v_dual_cndmask_b32 v3, v3, v15, s0
	s_or_b32 s0, s1, s2
	s_delay_alu instid0(VALU_DEP_1) | instid1(SALU_CYCLE_1)
	v_dual_cndmask_b32 v13, v13, v4, s0 :: v_dual_cndmask_b32 v2, v2, v6, s0
	s_delay_alu instid0(VALU_DEP_2)
	v_cndmask_b32_e64 v3, v3, v7, s0
.LBB1_30:
	s_or_b32 exec_lo, exec_lo, s3
	s_delay_alu instid0(SALU_CYCLE_1)
	s_mov_b32 s1, exec_lo
	v_cmpx_eq_u32_e32 0, v12
	s_cbranch_execz .LBB1_32
; %bb.31:
	s_wait_dscnt 0x0
	v_lshrrev_b32_e32 v4, 1, v0
	s_delay_alu instid0(VALU_DEP_1)
	v_and_b32_e32 v4, 0x1f0, v4
	ds_store_b64 v4, v[2:3]
	ds_store_b32 v4, v13 offset:8
.LBB1_32:
	s_or_b32 exec_lo, exec_lo, s1
	v_mov_b64_e32 v[2:3], 0
	v_mov_b32_e32 v6, 0
	s_wait_dscnt 0x0
	s_barrier_signal -1
	s_barrier_wait -1
	s_and_saveexec_b32 s0, vcc_lo
	s_cbranch_execz .LBB1_34
; %bb.33:
	ds_load_b64 v[2:3], v5
	ds_load_b32 v6, v5 offset:8
.LBB1_34:
	s_or_b32 exec_lo, exec_lo, s0
	s_and_saveexec_b32 s2, vcc_lo
	s_cbranch_execz .LBB1_54
; %bb.35:
	s_wait_dscnt 0x1
	ds_bpermute_b32 v4, v1, v2
	ds_bpermute_b32 v5, v1, v3
	s_wait_dscnt 0x2
	ds_bpermute_b32 v7, v1, v6
	v_mov_b32_e32 v1, v6
	s_mov_b32 s1, exec_lo
	s_wait_dscnt 0x1
	v_cmpx_ne_u64_e32 0, v[4:5]
	s_cbranch_execz .LBB1_39
; %bb.36:
	v_cmp_ne_u64_e32 vcc_lo, 0, v[2:3]
	s_wait_dscnt 0x0
	v_cmp_nlt_f32_e64 s0, v6, v7
	s_and_b32 s3, vcc_lo, s0
	s_delay_alu instid0(SALU_CYCLE_1)
	s_and_saveexec_b32 s0, s3
	s_cbranch_execz .LBB1_38
; %bb.37:
	v_min_i64 v[4:5], v[4:5], v[2:3]
	v_cmp_eq_f32_e32 vcc_lo, v6, v7
	s_delay_alu instid0(VALU_DEP_2) | instskip(NEXT) | instid1(VALU_DEP_3)
	v_dual_mov_b32 v7, v6 :: v_dual_cndmask_b32 v5, v3, v5, vcc_lo
	v_cndmask_b32_e32 v4, v2, v4, vcc_lo
.LBB1_38:
	s_or_b32 exec_lo, exec_lo, s0
	s_delay_alu instid0(VALU_DEP_1) | instskip(NEXT) | instid1(VALU_DEP_3)
	v_mov_b64_e32 v[2:3], v[4:5]
	v_dual_mov_b32 v6, v7 :: v_dual_mov_b32 v1, v7
.LBB1_39:
	s_or_b32 exec_lo, exec_lo, s1
	ds_bpermute_b32 v4, v8, v2
	ds_bpermute_b32 v5, v8, v3
	s_wait_dscnt 0x2
	ds_bpermute_b32 v7, v8, v6
	s_mov_b32 s1, exec_lo
	s_wait_dscnt 0x1
	v_cmpx_ne_u64_e32 0, v[4:5]
	s_cbranch_execz .LBB1_43
; %bb.40:
	v_cmp_ne_u64_e32 vcc_lo, 0, v[2:3]
	s_wait_dscnt 0x0
	v_cmp_nlt_f32_e64 s0, v1, v7
	v_mov_b32_e32 v8, v7
	s_and_b32 s3, vcc_lo, s0
	s_delay_alu instid0(SALU_CYCLE_1)
	s_and_saveexec_b32 s0, s3
	s_cbranch_execz .LBB1_42
; %bb.41:
	v_min_i64 v[4:5], v[4:5], v[2:3]
	v_cmp_eq_f32_e32 vcc_lo, v1, v7
	v_dual_mov_b32 v8, v1 :: v_dual_mov_b32 v7, v6
	s_delay_alu instid0(VALU_DEP_3)
	v_dual_cndmask_b32 v5, v3, v5 :: v_dual_cndmask_b32 v4, v2, v4
.LBB1_42:
	s_or_b32 exec_lo, exec_lo, s0
	s_delay_alu instid0(VALU_DEP_1) | instskip(NEXT) | instid1(VALU_DEP_2)
	v_mov_b64_e32 v[2:3], v[4:5]
	v_dual_mov_b32 v6, v7 :: v_dual_mov_b32 v1, v8
.LBB1_43:
	s_or_b32 exec_lo, exec_lo, s1
	ds_bpermute_b32 v4, v9, v2
	ds_bpermute_b32 v5, v9, v3
	s_wait_dscnt 0x2
	ds_bpermute_b32 v7, v9, v6
	s_mov_b32 s1, exec_lo
	s_wait_dscnt 0x1
	v_cmpx_ne_u64_e32 0, v[4:5]
	s_cbranch_execz .LBB1_47
; %bb.44:
	v_cmp_ne_u64_e32 vcc_lo, 0, v[2:3]
	s_wait_dscnt 0x0
	v_cmp_nlt_f32_e64 s0, v1, v7
	v_mov_b32_e32 v8, v7
	s_and_b32 s3, vcc_lo, s0
	s_delay_alu instid0(SALU_CYCLE_1)
	s_and_saveexec_b32 s0, s3
	s_cbranch_execz .LBB1_46
; %bb.45:
	v_min_i64 v[4:5], v[4:5], v[2:3]
	v_cmp_eq_f32_e32 vcc_lo, v1, v7
	v_dual_mov_b32 v8, v1 :: v_dual_mov_b32 v7, v6
	s_delay_alu instid0(VALU_DEP_3)
	v_dual_cndmask_b32 v5, v3, v5 :: v_dual_cndmask_b32 v4, v2, v4
.LBB1_46:
	s_or_b32 exec_lo, exec_lo, s0
	s_delay_alu instid0(VALU_DEP_1) | instskip(NEXT) | instid1(VALU_DEP_2)
	v_mov_b64_e32 v[2:3], v[4:5]
	v_dual_mov_b32 v6, v7 :: v_dual_mov_b32 v1, v8
.LBB1_47:
	;; [unrolled: 30-line block ×3, first 2 shown]
	s_or_b32 exec_lo, exec_lo, s1
	ds_bpermute_b32 v4, v11, v2
	ds_bpermute_b32 v5, v11, v3
	;; [unrolled: 1-line block ×3, first 2 shown]
	s_mov_b32 s3, exec_lo
	s_wait_dscnt 0x1
	v_cmpx_ne_u64_e32 0, v[4:5]
	s_cbranch_execz .LBB1_53
; %bb.52:
	v_min_i64 v[8:9], v[4:5], v[2:3]
	s_wait_dscnt 0x0
	v_cmp_eq_f32_e32 vcc_lo, v1, v6
	v_cmp_eq_u64_e64 s0, 0, v[2:3]
	v_cmp_lt_f32_e64 s1, v1, v6
	s_delay_alu instid0(VALU_DEP_4) | instskip(SKIP_1) | instid1(VALU_DEP_1)
	v_dual_cndmask_b32 v1, v2, v8 :: v_dual_cndmask_b32 v2, v3, v9
	s_or_b32 vcc_lo, s0, s1
	v_dual_cndmask_b32 v3, v2, v5 :: v_dual_cndmask_b32 v2, v1, v4
.LBB1_53:
	s_or_b32 exec_lo, exec_lo, s3
.LBB1_54:
	s_delay_alu instid0(SALU_CYCLE_1) | instskip(NEXT) | instid1(SALU_CYCLE_1)
	s_or_b32 exec_lo, exec_lo, s2
	s_mov_b32 s0, exec_lo
	v_cmpx_eq_u32_e32 0, v0
	s_cbranch_execz .LBB1_56
; %bb.55:
	s_bfe_u32 s0, ttmp6, 0x4000c
	s_and_b32 s1, ttmp6, 15
	s_add_co_i32 s0, s0, 1
	s_delay_alu instid0(SALU_CYCLE_1) | instskip(NEXT) | instid1(SALU_CYCLE_1)
	s_mul_i32 s0, ttmp9, s0
	s_add_co_i32 s1, s1, s0
	s_cmp_eq_u32 s8, 0
	s_cselect_b32 s0, ttmp9, s1
	s_delay_alu instid0(SALU_CYCLE_1)
	v_mov_b32_e32 v0, s0
	s_wait_dscnt 0x1
	global_store_b64 v0, v[2:3], s[6:7] scale_offset
.LBB1_56:
	s_endpgm
	.section	.rodata,"a",@progbits
	.p2align	6, 0x0
	.amdhsa_kernel _ZL35rocblas_iamax_iamin_kernel_part2_64ILi1024E22rocblas_reduce_amax_6424rocblas_index_64_value_tIfElEviPT1_PT2_
		.amdhsa_group_segment_fixed_size 512
		.amdhsa_private_segment_fixed_size 0
		.amdhsa_kernarg_size 24
		.amdhsa_user_sgpr_count 2
		.amdhsa_user_sgpr_dispatch_ptr 0
		.amdhsa_user_sgpr_queue_ptr 0
		.amdhsa_user_sgpr_kernarg_segment_ptr 1
		.amdhsa_user_sgpr_dispatch_id 0
		.amdhsa_user_sgpr_kernarg_preload_length 0
		.amdhsa_user_sgpr_kernarg_preload_offset 0
		.amdhsa_user_sgpr_private_segment_size 0
		.amdhsa_wavefront_size32 1
		.amdhsa_uses_dynamic_stack 0
		.amdhsa_enable_private_segment 0
		.amdhsa_system_sgpr_workgroup_id_x 1
		.amdhsa_system_sgpr_workgroup_id_y 0
		.amdhsa_system_sgpr_workgroup_id_z 0
		.amdhsa_system_sgpr_workgroup_info 0
		.amdhsa_system_vgpr_workitem_id 0
		.amdhsa_next_free_vgpr 16
		.amdhsa_next_free_sgpr 10
		.amdhsa_named_barrier_count 0
		.amdhsa_reserve_vcc 1
		.amdhsa_float_round_mode_32 0
		.amdhsa_float_round_mode_16_64 0
		.amdhsa_float_denorm_mode_32 3
		.amdhsa_float_denorm_mode_16_64 3
		.amdhsa_fp16_overflow 0
		.amdhsa_memory_ordered 1
		.amdhsa_forward_progress 1
		.amdhsa_inst_pref_size 17
		.amdhsa_round_robin_scheduling 0
		.amdhsa_exception_fp_ieee_invalid_op 0
		.amdhsa_exception_fp_denorm_src 0
		.amdhsa_exception_fp_ieee_div_zero 0
		.amdhsa_exception_fp_ieee_overflow 0
		.amdhsa_exception_fp_ieee_underflow 0
		.amdhsa_exception_fp_ieee_inexact 0
		.amdhsa_exception_int_div_zero 0
	.end_amdhsa_kernel
	.section	.text._ZL35rocblas_iamax_iamin_kernel_part2_64ILi1024E22rocblas_reduce_amax_6424rocblas_index_64_value_tIfElEviPT1_PT2_,"axG",@progbits,_ZL35rocblas_iamax_iamin_kernel_part2_64ILi1024E22rocblas_reduce_amax_6424rocblas_index_64_value_tIfElEviPT1_PT2_,comdat
.Lfunc_end1:
	.size	_ZL35rocblas_iamax_iamin_kernel_part2_64ILi1024E22rocblas_reduce_amax_6424rocblas_index_64_value_tIfElEviPT1_PT2_, .Lfunc_end1-_ZL35rocblas_iamax_iamin_kernel_part2_64ILi1024E22rocblas_reduce_amax_6424rocblas_index_64_value_tIfElEviPT1_PT2_
                                        ; -- End function
	.set _ZL35rocblas_iamax_iamin_kernel_part2_64ILi1024E22rocblas_reduce_amax_6424rocblas_index_64_value_tIfElEviPT1_PT2_.num_vgpr, 16
	.set _ZL35rocblas_iamax_iamin_kernel_part2_64ILi1024E22rocblas_reduce_amax_6424rocblas_index_64_value_tIfElEviPT1_PT2_.num_agpr, 0
	.set _ZL35rocblas_iamax_iamin_kernel_part2_64ILi1024E22rocblas_reduce_amax_6424rocblas_index_64_value_tIfElEviPT1_PT2_.numbered_sgpr, 10
	.set _ZL35rocblas_iamax_iamin_kernel_part2_64ILi1024E22rocblas_reduce_amax_6424rocblas_index_64_value_tIfElEviPT1_PT2_.num_named_barrier, 0
	.set _ZL35rocblas_iamax_iamin_kernel_part2_64ILi1024E22rocblas_reduce_amax_6424rocblas_index_64_value_tIfElEviPT1_PT2_.private_seg_size, 0
	.set _ZL35rocblas_iamax_iamin_kernel_part2_64ILi1024E22rocblas_reduce_amax_6424rocblas_index_64_value_tIfElEviPT1_PT2_.uses_vcc, 1
	.set _ZL35rocblas_iamax_iamin_kernel_part2_64ILi1024E22rocblas_reduce_amax_6424rocblas_index_64_value_tIfElEviPT1_PT2_.uses_flat_scratch, 0
	.set _ZL35rocblas_iamax_iamin_kernel_part2_64ILi1024E22rocblas_reduce_amax_6424rocblas_index_64_value_tIfElEviPT1_PT2_.has_dyn_sized_stack, 0
	.set _ZL35rocblas_iamax_iamin_kernel_part2_64ILi1024E22rocblas_reduce_amax_6424rocblas_index_64_value_tIfElEviPT1_PT2_.has_recursion, 0
	.set _ZL35rocblas_iamax_iamin_kernel_part2_64ILi1024E22rocblas_reduce_amax_6424rocblas_index_64_value_tIfElEviPT1_PT2_.has_indirect_call, 0
	.section	.AMDGPU.csdata,"",@progbits
; Kernel info:
; codeLenInByte = 2112
; TotalNumSgprs: 12
; NumVgprs: 16
; ScratchSize: 0
; MemoryBound: 0
; FloatMode: 240
; IeeeMode: 1
; LDSByteSize: 512 bytes/workgroup (compile time only)
; SGPRBlocks: 0
; VGPRBlocks: 0
; NumSGPRsForWavesPerEU: 12
; NumVGPRsForWavesPerEU: 16
; NamedBarCnt: 0
; Occupancy: 16
; WaveLimiterHint : 0
; COMPUTE_PGM_RSRC2:SCRATCH_EN: 0
; COMPUTE_PGM_RSRC2:USER_SGPR: 2
; COMPUTE_PGM_RSRC2:TRAP_HANDLER: 0
; COMPUTE_PGM_RSRC2:TGID_X_EN: 1
; COMPUTE_PGM_RSRC2:TGID_Y_EN: 0
; COMPUTE_PGM_RSRC2:TGID_Z_EN: 0
; COMPUTE_PGM_RSRC2:TIDIG_COMP_CNT: 0
	.section	.text._ZL35rocblas_iamax_iamin_kernel_part1_64ILi1024E26rocblas_fetch_amax_amin_64IdE22rocblas_reduce_amax_64PKd24rocblas_index_64_value_tIdEEvlT2_lllPT3_,"axG",@progbits,_ZL35rocblas_iamax_iamin_kernel_part1_64ILi1024E26rocblas_fetch_amax_amin_64IdE22rocblas_reduce_amax_64PKd24rocblas_index_64_value_tIdEEvlT2_lllPT3_,comdat
	.globl	_ZL35rocblas_iamax_iamin_kernel_part1_64ILi1024E26rocblas_fetch_amax_amin_64IdE22rocblas_reduce_amax_64PKd24rocblas_index_64_value_tIdEEvlT2_lllPT3_ ; -- Begin function _ZL35rocblas_iamax_iamin_kernel_part1_64ILi1024E26rocblas_fetch_amax_amin_64IdE22rocblas_reduce_amax_64PKd24rocblas_index_64_value_tIdEEvlT2_lllPT3_
	.p2align	8
	.type	_ZL35rocblas_iamax_iamin_kernel_part1_64ILi1024E26rocblas_fetch_amax_amin_64IdE22rocblas_reduce_amax_64PKd24rocblas_index_64_value_tIdEEvlT2_lllPT3_,@function
_ZL35rocblas_iamax_iamin_kernel_part1_64ILi1024E26rocblas_fetch_amax_amin_64IdE22rocblas_reduce_amax_64PKd24rocblas_index_64_value_tIdEEvlT2_lllPT3_: ; @_ZL35rocblas_iamax_iamin_kernel_part1_64ILi1024E26rocblas_fetch_amax_amin_64IdE22rocblas_reduce_amax_64PKd24rocblas_index_64_value_tIdEEvlT2_lllPT3_
; %bb.0:
	s_clause 0x1
	s_load_b256 s[8:15], s[0:1], 0x0
	s_load_b128 s[4:7], s[0:1], 0x20
	s_bfe_u32 s2, ttmp6, 0x40014
	s_lshr_b32 s3, ttmp7, 16
	s_add_co_i32 s2, s2, 1
	s_bfe_u32 s17, ttmp6, 0x4000c
	s_mul_i32 s2, s3, s2
	s_bfe_u32 s16, ttmp6, 0x40008
	s_add_co_i32 s17, s17, 1
	s_add_co_i32 s16, s16, s2
	s_and_b32 s2, ttmp6, 15
	s_mul_i32 s17, ttmp9, s17
	s_getreg_b32 s19, hwreg(HW_REG_IB_STS2, 6, 4)
	s_add_co_i32 s2, s2, s17
	s_cmp_eq_u32 s19, 0
	s_mov_b32 s17, 0
	s_cselect_b32 s20, ttmp9, s2
	s_cselect_b32 s16, s3, s16
	s_wait_kmcnt 0x0
	v_cmp_lt_i64_e64 s18, s[8:9], 1
	s_and_b32 vcc_lo, exec_lo, s18
	s_cbranch_vccnz .LBB2_53
; %bb.1:
	v_dual_mov_b32 v2, 0 :: v_dual_bitop2_b32 v3, 31, v0 bitop3:0x40
	v_lshl_or_b32 v18, s20, 10, v0
	v_mbcnt_lo_u32_b32 v6, -1, 0
	s_load_b32 s18, s[0:1], 0x30
	s_delay_alu instid0(VALU_DEP_3) | instskip(SKIP_1) | instid1(VALU_DEP_2)
	v_dual_mov_b32 v19, v2 :: v_dual_lshlrev_b32 v1, 4, v3
	s_mul_u64 s[4:5], s[4:5], s[16:17]
	v_cmp_gt_u32_e32 vcc_lo, 24, v6
	s_lshl_b64 s[12:13], s[12:13], 3
	s_delay_alu instid0(VALU_DEP_2)
	v_mul_u64_e32 v[4:5], s[14:15], v[18:19]
	s_lshl_b64 s[4:5], s[4:5], 3
	s_add_nc_u64 s[10:11], s[10:11], s[12:13]
	v_cndmask_b32_e64 v7, 0, 8, vcc_lo
	v_cmp_gt_u32_e32 vcc_lo, 28, v6
	v_lshl_or_b32 v24, v6, 2, 64
	s_add_nc_u64 s[4:5], s[10:11], s[4:5]
	s_mov_b32 s19, s17
	v_add_lshl_u32 v25, v7, v6, 2
	v_cndmask_b32_e64 v8, 0, 4, vcc_lo
	v_cmp_gt_u32_e32 vcc_lo, 30, v6
	v_cmp_gt_u32_e64 s2, 32, v0
	v_cmp_eq_u32_e64 s3, 0, v3
	s_mov_b64 s[12:13], 0
	v_add_lshl_u32 v26, v8, v6, 2
	v_cndmask_b32_e64 v9, 0, 2, vcc_lo
	v_cmp_ne_u32_e32 vcc_lo, 31, v6
	s_wait_kmcnt 0x0
	s_lshl_b32 s18, s18, 10
                                        ; implicit-def: $vgpr12_vgpr13
	s_delay_alu instid0(SALU_CYCLE_1)
	s_mul_u64 s[10:11], s[14:15], s[18:19]
	v_add_lshl_u32 v27, v9, v6, 2
	v_add_co_ci_u32_e64 v10, null, 0, v6, vcc_lo
	v_lshrrev_b32_e32 v7, 1, v0
	v_cmp_ne_u32_e32 vcc_lo, 0, v0
	s_lshl_b64 s[10:11], s[10:11], 3
	s_delay_alu instid0(VALU_DEP_3) | instskip(NEXT) | instid1(VALU_DEP_3)
	v_lshlrev_b32_e32 v28, 2, v10
	v_and_b32_e32 v29, 0x1f0, v7
	v_mov_b64_e32 v[6:7], 0
	s_xor_b32 s14, vcc_lo, -1
	v_lshl_add_u64 v[20:21], v[4:5], 3, s[4:5]
	s_branch .LBB2_4
.LBB2_2:                                ;   in Loop: Header=BB2_4 Depth=1
	s_or_b32 exec_lo, exec_lo, s4
	s_delay_alu instid0(VALU_DEP_2) | instskip(NEXT) | instid1(VALU_DEP_2)
	v_mov_b64_e32 v[6:7], v[10:11]
	v_mov_b64_e32 v[8:9], v[4:5]
.LBB2_3:                                ;   in Loop: Header=BB2_4 Depth=1
	s_or_b32 exec_lo, exec_lo, s5
	s_add_nc_u64 s[12:13], s[12:13], s[18:19]
	v_add_nc_u64_e32 v[20:21], s[10:11], v[20:21]
	v_cmp_ge_i64_e64 s4, s[12:13], s[8:9]
	s_and_b32 vcc_lo, exec_lo, s4
	s_cbranch_vccnz .LBB2_54
.LBB2_4:                                ; =>This Inner Loop Header: Depth=1
	v_add_nc_u64_e32 v[4:5], s[12:13], v[18:19]
	v_mov_b64_e32 v[14:15], 0
	s_mov_b32 s4, exec_lo
	s_delay_alu instid0(VALU_DEP_2)
	v_cmpx_gt_i64_e64 s[8:9], v[4:5]
	s_cbranch_execz .LBB2_6
; %bb.5:                                ;   in Loop: Header=BB2_4 Depth=1
	global_load_b64 v[12:13], v[20:21], off
	v_add_nc_u64_e32 v[14:15], 1, v[4:5]
	s_wait_loadcnt 0x0
	v_cmp_gt_f64_e32 vcc_lo, 0, v[12:13]
	v_xor_b32_e32 v3, 0x80000000, v13
	s_delay_alu instid0(VALU_DEP_1)
	v_cndmask_b32_e32 v13, v13, v3, vcc_lo
.LBB2_6:                                ;   in Loop: Header=BB2_4 Depth=1
	s_or_b32 exec_lo, exec_lo, s4
	s_and_saveexec_b32 s4, s2
; %bb.7:                                ;   in Loop: Header=BB2_4 Depth=1
	v_dual_mov_b32 v3, v2 :: v_dual_mov_b32 v4, v2
	v_mov_b32_e32 v5, v2
	ds_store_b128 v1, v[2:5]
; %bb.8:                                ;   in Loop: Header=BB2_4 Depth=1
	s_or_b32 exec_lo, exec_lo, s4
	ds_bpermute_b32 v4, v24, v14
	ds_bpermute_b32 v5, v24, v15
	;; [unrolled: 1-line block ×4, first 2 shown]
	v_mov_b64_e32 v[16:17], v[12:13]
	s_mov_b32 s5, exec_lo
	s_wait_dscnt 0x0
	s_barrier_signal -1
	s_barrier_wait -1
	v_cmpx_ne_u64_e32 0, v[4:5]
	s_cbranch_execz .LBB2_12
; %bb.9:                                ;   in Loop: Header=BB2_4 Depth=1
	v_cmp_nlt_f64_e32 vcc_lo, v[12:13], v[10:11]
	v_cmp_ne_u64_e64 s4, 0, v[14:15]
	v_mov_b64_e32 v[16:17], v[10:11]
	s_and_b32 s15, s4, vcc_lo
	s_delay_alu instid0(SALU_CYCLE_1)
	s_and_saveexec_b32 s4, s15
	s_cbranch_execz .LBB2_11
; %bb.10:                               ;   in Loop: Header=BB2_4 Depth=1
	v_min_i64 v[4:5], v[4:5], v[14:15]
	v_cmp_eq_f64_e32 vcc_lo, v[12:13], v[10:11]
	v_mov_b64_e32 v[16:17], v[12:13]
	v_dual_mov_b32 v10, v12 :: v_dual_mov_b32 v11, v13
	s_delay_alu instid0(VALU_DEP_4)
	v_dual_cndmask_b32 v4, v14, v4 :: v_dual_cndmask_b32 v5, v15, v5
.LBB2_11:                               ;   in Loop: Header=BB2_4 Depth=1
	s_or_b32 exec_lo, exec_lo, s4
	s_delay_alu instid0(VALU_DEP_1) | instskip(NEXT) | instid1(VALU_DEP_3)
	v_mov_b64_e32 v[14:15], v[4:5]
	v_dual_mov_b32 v13, v11 :: v_dual_mov_b32 v12, v10
.LBB2_12:                               ;   in Loop: Header=BB2_4 Depth=1
	s_or_b32 exec_lo, exec_lo, s5
	ds_bpermute_b32 v4, v25, v14
	ds_bpermute_b32 v5, v25, v15
	;; [unrolled: 1-line block ×4, first 2 shown]
	s_mov_b32 s5, exec_lo
	s_wait_dscnt 0x2
	v_cmpx_ne_u64_e32 0, v[4:5]
	s_cbranch_execz .LBB2_16
; %bb.13:                               ;   in Loop: Header=BB2_4 Depth=1
	s_wait_dscnt 0x0
	v_cmp_nlt_f64_e32 vcc_lo, v[16:17], v[10:11]
	v_cmp_ne_u64_e64 s4, 0, v[14:15]
	v_mov_b64_e32 v[22:23], v[10:11]
	s_and_b32 s15, s4, vcc_lo
	s_delay_alu instid0(SALU_CYCLE_1)
	s_and_saveexec_b32 s4, s15
	s_cbranch_execz .LBB2_15
; %bb.14:                               ;   in Loop: Header=BB2_4 Depth=1
	v_min_i64 v[4:5], v[4:5], v[14:15]
	v_cmp_eq_f64_e32 vcc_lo, v[16:17], v[10:11]
	v_mov_b64_e32 v[22:23], v[16:17]
	v_dual_mov_b32 v10, v12 :: v_dual_mov_b32 v11, v13
	s_delay_alu instid0(VALU_DEP_4)
	v_dual_cndmask_b32 v4, v14, v4 :: v_dual_cndmask_b32 v5, v15, v5
.LBB2_15:                               ;   in Loop: Header=BB2_4 Depth=1
	s_or_b32 exec_lo, exec_lo, s4
	s_delay_alu instid0(VALU_DEP_1) | instskip(NEXT) | instid1(VALU_DEP_2)
	v_mov_b64_e32 v[14:15], v[4:5]
	v_mov_b64_e32 v[16:17], v[22:23]
	v_dual_mov_b32 v13, v11 :: v_dual_mov_b32 v12, v10
.LBB2_16:                               ;   in Loop: Header=BB2_4 Depth=1
	s_or_b32 exec_lo, exec_lo, s5
	ds_bpermute_b32 v4, v26, v14
	ds_bpermute_b32 v5, v26, v15
	s_wait_dscnt 0x3
	ds_bpermute_b32 v10, v26, v12
	s_wait_dscnt 0x3
	ds_bpermute_b32 v11, v26, v13
	s_mov_b32 s5, exec_lo
	s_wait_dscnt 0x2
	v_cmpx_ne_u64_e32 0, v[4:5]
	s_cbranch_execz .LBB2_20
; %bb.17:                               ;   in Loop: Header=BB2_4 Depth=1
	s_wait_dscnt 0x0
	v_cmp_nlt_f64_e32 vcc_lo, v[16:17], v[10:11]
	v_cmp_ne_u64_e64 s4, 0, v[14:15]
	v_mov_b64_e32 v[22:23], v[10:11]
	s_and_b32 s15, s4, vcc_lo
	s_delay_alu instid0(SALU_CYCLE_1)
	s_and_saveexec_b32 s4, s15
	s_cbranch_execz .LBB2_19
; %bb.18:                               ;   in Loop: Header=BB2_4 Depth=1
	v_min_i64 v[4:5], v[4:5], v[14:15]
	v_cmp_eq_f64_e32 vcc_lo, v[16:17], v[10:11]
	v_mov_b64_e32 v[22:23], v[16:17]
	v_dual_mov_b32 v10, v12 :: v_dual_mov_b32 v11, v13
	s_delay_alu instid0(VALU_DEP_4)
	v_dual_cndmask_b32 v4, v14, v4 :: v_dual_cndmask_b32 v5, v15, v5
.LBB2_19:                               ;   in Loop: Header=BB2_4 Depth=1
	s_or_b32 exec_lo, exec_lo, s4
	s_delay_alu instid0(VALU_DEP_1) | instskip(NEXT) | instid1(VALU_DEP_2)
	v_mov_b64_e32 v[14:15], v[4:5]
	v_mov_b64_e32 v[16:17], v[22:23]
	v_dual_mov_b32 v13, v11 :: v_dual_mov_b32 v12, v10
.LBB2_20:                               ;   in Loop: Header=BB2_4 Depth=1
	s_or_b32 exec_lo, exec_lo, s5
	ds_bpermute_b32 v4, v27, v14
	ds_bpermute_b32 v5, v27, v15
	s_wait_dscnt 0x3
	ds_bpermute_b32 v10, v27, v12
	s_wait_dscnt 0x3
	ds_bpermute_b32 v11, v27, v13
	s_mov_b32 s5, exec_lo
	s_wait_dscnt 0x2
	v_cmpx_ne_u64_e32 0, v[4:5]
	s_cbranch_execz .LBB2_24
; %bb.21:                               ;   in Loop: Header=BB2_4 Depth=1
	s_wait_dscnt 0x0
	v_cmp_nlt_f64_e32 vcc_lo, v[16:17], v[10:11]
	v_cmp_ne_u64_e64 s4, 0, v[14:15]
	v_mov_b64_e32 v[22:23], v[10:11]
	s_and_b32 s15, s4, vcc_lo
	s_delay_alu instid0(SALU_CYCLE_1)
	s_and_saveexec_b32 s4, s15
	s_cbranch_execz .LBB2_23
; %bb.22:                               ;   in Loop: Header=BB2_4 Depth=1
	v_min_i64 v[4:5], v[4:5], v[14:15]
	v_cmp_eq_f64_e32 vcc_lo, v[16:17], v[10:11]
	v_mov_b64_e32 v[22:23], v[16:17]
	v_dual_mov_b32 v10, v12 :: v_dual_mov_b32 v11, v13
	s_delay_alu instid0(VALU_DEP_4)
	v_dual_cndmask_b32 v4, v14, v4 :: v_dual_cndmask_b32 v5, v15, v5
.LBB2_23:                               ;   in Loop: Header=BB2_4 Depth=1
	s_or_b32 exec_lo, exec_lo, s4
	s_delay_alu instid0(VALU_DEP_1) | instskip(NEXT) | instid1(VALU_DEP_2)
	v_mov_b64_e32 v[14:15], v[4:5]
	v_mov_b64_e32 v[16:17], v[22:23]
	v_dual_mov_b32 v13, v11 :: v_dual_mov_b32 v12, v10
.LBB2_24:                               ;   in Loop: Header=BB2_4 Depth=1
	s_or_b32 exec_lo, exec_lo, s5
	s_wait_dscnt 0x1
	ds_bpermute_b32 v10, v28, v14
	s_wait_dscnt 0x1
	ds_bpermute_b32 v11, v28, v15
	ds_bpermute_b32 v4, v28, v12
	;; [unrolled: 1-line block ×3, first 2 shown]
	s_mov_b32 s15, exec_lo
	s_wait_dscnt 0x2
	v_cmpx_ne_u64_e32 0, v[10:11]
	s_cbranch_execz .LBB2_26
; %bb.25:                               ;   in Loop: Header=BB2_4 Depth=1
	v_min_i64 v[22:23], v[10:11], v[14:15]
	s_wait_dscnt 0x0
	v_mov_b32_e32 v5, v12
	v_cmp_eq_u64_e64 s5, 0, v[14:15]
	s_delay_alu instid0(VALU_DEP_2) | instskip(NEXT) | instid1(VALU_DEP_4)
	v_cmp_eq_f64_e32 vcc_lo, v[16:17], v[4:5]
	v_cndmask_b32_e32 v3, v14, v22, vcc_lo
	v_cmp_lt_f64_e64 s4, v[16:17], v[4:5]
	v_cndmask_b32_e32 v5, v15, v23, vcc_lo
	s_or_b32 vcc_lo, s5, s4
	v_dual_cndmask_b32 v14, v3, v10 :: v_dual_cndmask_b32 v17, v17, v12
	s_delay_alu instid0(VALU_DEP_2)
	v_dual_cndmask_b32 v15, v5, v11 :: v_dual_cndmask_b32 v16, v16, v4
.LBB2_26:                               ;   in Loop: Header=BB2_4 Depth=1
	s_or_b32 exec_lo, exec_lo, s15
	s_and_saveexec_b32 s4, s3
; %bb.27:                               ;   in Loop: Header=BB2_4 Depth=1
	ds_store_b128 v29, v[14:17]
; %bb.28:                               ;   in Loop: Header=BB2_4 Depth=1
	s_or_b32 exec_lo, exec_lo, s4
	s_wait_dscnt 0x0
	v_mov_b64_e32 v[12:13], 0
	v_mov_b64_e32 v[10:11], 0
	s_barrier_signal -1
	s_barrier_wait -1
	s_and_saveexec_b32 s4, s2
; %bb.29:                               ;   in Loop: Header=BB2_4 Depth=1
	ds_load_b128 v[10:13], v1
; %bb.30:                               ;   in Loop: Header=BB2_4 Depth=1
	s_or_b32 exec_lo, exec_lo, s4
	s_and_saveexec_b32 s15, s2
	s_cbranch_execz .LBB2_50
; %bb.31:                               ;   in Loop: Header=BB2_4 Depth=1
	s_wait_dscnt 0x0
	ds_bpermute_b32 v14, v24, v10
	ds_bpermute_b32 v15, v24, v11
	;; [unrolled: 1-line block ×4, first 2 shown]
	v_mov_b64_e32 v[4:5], v[12:13]
	s_mov_b32 s5, exec_lo
	s_wait_dscnt 0x2
	v_cmpx_ne_u64_e32 0, v[14:15]
	s_cbranch_execz .LBB2_35
; %bb.32:                               ;   in Loop: Header=BB2_4 Depth=1
	s_wait_dscnt 0x0
	v_cmp_nlt_f64_e32 vcc_lo, v[12:13], v[16:17]
	v_cmp_ne_u64_e64 s4, 0, v[10:11]
	v_mov_b64_e32 v[4:5], v[16:17]
	s_and_b32 s21, s4, vcc_lo
	s_delay_alu instid0(SALU_CYCLE_1)
	s_and_saveexec_b32 s4, s21
	s_cbranch_execz .LBB2_34
; %bb.33:                               ;   in Loop: Header=BB2_4 Depth=1
	v_min_i64 v[14:15], v[14:15], v[10:11]
	v_cmp_eq_f64_e32 vcc_lo, v[12:13], v[16:17]
	v_mov_b64_e32 v[4:5], v[12:13]
	v_dual_mov_b32 v16, v12 :: v_dual_mov_b32 v17, v13
	s_delay_alu instid0(VALU_DEP_4)
	v_dual_cndmask_b32 v14, v10, v14 :: v_dual_cndmask_b32 v15, v11, v15
.LBB2_34:                               ;   in Loop: Header=BB2_4 Depth=1
	s_or_b32 exec_lo, exec_lo, s4
	s_delay_alu instid0(VALU_DEP_1) | instskip(NEXT) | instid1(VALU_DEP_3)
	v_mov_b64_e32 v[10:11], v[14:15]
	v_dual_mov_b32 v13, v17 :: v_dual_mov_b32 v12, v16
.LBB2_35:                               ;   in Loop: Header=BB2_4 Depth=1
	s_or_b32 exec_lo, exec_lo, s5
	ds_bpermute_b32 v14, v25, v10
	ds_bpermute_b32 v15, v25, v11
	s_wait_dscnt 0x3
	ds_bpermute_b32 v16, v25, v12
	s_wait_dscnt 0x3
	ds_bpermute_b32 v17, v25, v13
	s_mov_b32 s5, exec_lo
	s_wait_dscnt 0x2
	v_cmpx_ne_u64_e32 0, v[14:15]
	s_cbranch_execz .LBB2_39
; %bb.36:                               ;   in Loop: Header=BB2_4 Depth=1
	s_wait_dscnt 0x0
	v_cmp_nlt_f64_e32 vcc_lo, v[4:5], v[16:17]
	v_cmp_ne_u64_e64 s4, 0, v[10:11]
	v_mov_b64_e32 v[22:23], v[16:17]
	s_and_b32 s21, s4, vcc_lo
	s_delay_alu instid0(SALU_CYCLE_1)
	s_and_saveexec_b32 s4, s21
	s_cbranch_execz .LBB2_38
; %bb.37:                               ;   in Loop: Header=BB2_4 Depth=1
	v_min_i64 v[14:15], v[14:15], v[10:11]
	v_cmp_eq_f64_e32 vcc_lo, v[4:5], v[16:17]
	v_mov_b64_e32 v[22:23], v[4:5]
	v_dual_mov_b32 v16, v12 :: v_dual_mov_b32 v17, v13
	s_delay_alu instid0(VALU_DEP_4)
	v_dual_cndmask_b32 v14, v10, v14 :: v_dual_cndmask_b32 v15, v11, v15
.LBB2_38:                               ;   in Loop: Header=BB2_4 Depth=1
	s_or_b32 exec_lo, exec_lo, s4
	s_delay_alu instid0(VALU_DEP_1) | instskip(NEXT) | instid1(VALU_DEP_2)
	v_mov_b64_e32 v[10:11], v[14:15]
	v_mov_b64_e32 v[4:5], v[22:23]
	v_dual_mov_b32 v13, v17 :: v_dual_mov_b32 v12, v16
.LBB2_39:                               ;   in Loop: Header=BB2_4 Depth=1
	s_or_b32 exec_lo, exec_lo, s5
	ds_bpermute_b32 v14, v26, v10
	ds_bpermute_b32 v15, v26, v11
	s_wait_dscnt 0x3
	ds_bpermute_b32 v16, v26, v12
	s_wait_dscnt 0x3
	ds_bpermute_b32 v17, v26, v13
	s_mov_b32 s5, exec_lo
	s_wait_dscnt 0x2
	v_cmpx_ne_u64_e32 0, v[14:15]
	s_cbranch_execz .LBB2_43
; %bb.40:                               ;   in Loop: Header=BB2_4 Depth=1
	s_wait_dscnt 0x0
	v_cmp_nlt_f64_e32 vcc_lo, v[4:5], v[16:17]
	v_cmp_ne_u64_e64 s4, 0, v[10:11]
	v_mov_b64_e32 v[22:23], v[16:17]
	s_and_b32 s21, s4, vcc_lo
	s_delay_alu instid0(SALU_CYCLE_1)
	s_and_saveexec_b32 s4, s21
	s_cbranch_execz .LBB2_42
; %bb.41:                               ;   in Loop: Header=BB2_4 Depth=1
	v_min_i64 v[14:15], v[14:15], v[10:11]
	v_cmp_eq_f64_e32 vcc_lo, v[4:5], v[16:17]
	v_mov_b64_e32 v[22:23], v[4:5]
	v_dual_mov_b32 v16, v12 :: v_dual_mov_b32 v17, v13
	s_delay_alu instid0(VALU_DEP_4)
	v_dual_cndmask_b32 v14, v10, v14 :: v_dual_cndmask_b32 v15, v11, v15
.LBB2_42:                               ;   in Loop: Header=BB2_4 Depth=1
	s_or_b32 exec_lo, exec_lo, s4
	s_delay_alu instid0(VALU_DEP_1) | instskip(NEXT) | instid1(VALU_DEP_2)
	v_mov_b64_e32 v[10:11], v[14:15]
	v_mov_b64_e32 v[4:5], v[22:23]
	v_dual_mov_b32 v13, v17 :: v_dual_mov_b32 v12, v16
.LBB2_43:                               ;   in Loop: Header=BB2_4 Depth=1
	;; [unrolled: 34-line block ×3, first 2 shown]
	s_or_b32 exec_lo, exec_lo, s5
	ds_bpermute_b32 v14, v28, v10
	ds_bpermute_b32 v15, v28, v11
	;; [unrolled: 1-line block ×3, first 2 shown]
	s_wait_dscnt 0x4
	ds_bpermute_b32 v16, v28, v13
	s_mov_b32 s21, exec_lo
	s_wait_dscnt 0x2
	v_cmpx_ne_u64_e32 0, v[14:15]
	s_cbranch_execz .LBB2_49
; %bb.48:                               ;   in Loop: Header=BB2_4 Depth=1
	v_min_i64 v[22:23], v[14:15], v[10:11]
	s_wait_dscnt 0x0
	v_mov_b32_e32 v13, v16
	v_cmp_eq_u64_e64 s5, 0, v[10:11]
	s_delay_alu instid0(VALU_DEP_2) | instskip(NEXT) | instid1(VALU_DEP_4)
	v_cmp_eq_f64_e32 vcc_lo, v[4:5], v[12:13]
	v_cndmask_b32_e32 v3, v10, v22, vcc_lo
	v_cmp_lt_f64_e64 s4, v[4:5], v[12:13]
	v_cndmask_b32_e32 v10, v11, v23, vcc_lo
	s_or_b32 vcc_lo, s5, s4
	s_delay_alu instid0(VALU_DEP_1) | instid1(SALU_CYCLE_1)
	v_dual_cndmask_b32 v5, v5, v16, vcc_lo :: v_dual_cndmask_b32 v11, v10, v15, vcc_lo
	v_dual_cndmask_b32 v10, v3, v14, vcc_lo :: v_dual_cndmask_b32 v4, v4, v12, vcc_lo
.LBB2_49:                               ;   in Loop: Header=BB2_4 Depth=1
	s_or_b32 exec_lo, exec_lo, s21
	s_wait_dscnt 0x1
	s_delay_alu instid0(VALU_DEP_1)
	v_mov_b64_e32 v[12:13], v[4:5]
.LBB2_50:                               ;   in Loop: Header=BB2_4 Depth=1
	s_or_b32 exec_lo, exec_lo, s15
	s_wait_dscnt 0x0
	v_cmp_ne_u64_e32 vcc_lo, 0, v[10:11]
	s_and_b32 s4, s14, vcc_lo
	s_delay_alu instid0(SALU_CYCLE_1)
	s_and_saveexec_b32 s5, s4
	s_cbranch_execz .LBB2_3
; %bb.51:                               ;   in Loop: Header=BB2_4 Depth=1
	v_cmp_ngt_f64_e32 vcc_lo, v[12:13], v[8:9]
	v_cmp_ne_u64_e64 s4, 0, v[6:7]
	v_mov_b64_e32 v[4:5], v[12:13]
	s_and_b32 s15, s4, vcc_lo
	s_delay_alu instid0(SALU_CYCLE_1)
	s_and_saveexec_b32 s4, s15
	s_cbranch_execz .LBB2_2
; %bb.52:                               ;   in Loop: Header=BB2_4 Depth=1
	v_min_i64 v[4:5], v[10:11], v[6:7]
	v_cmp_eq_f64_e32 vcc_lo, v[8:9], v[12:13]
	s_delay_alu instid0(VALU_DEP_2)
	v_dual_cndmask_b32 v11, v7, v5 :: v_dual_cndmask_b32 v10, v6, v4
	v_mov_b64_e32 v[4:5], v[8:9]
	s_branch .LBB2_2
.LBB2_53:
	v_mov_b64_e32 v[6:7], 0
.LBB2_54:
	s_mov_b32 s3, 0
	s_mov_b32 s2, exec_lo
	v_cmpx_eq_u32_e32 0, v0
	s_cbranch_execz .LBB2_56
; %bb.55:
	s_load_b32 s2, s[0:1], 0x30
	v_mov_b32_e32 v0, s20
	s_wait_kmcnt 0x0
	s_mul_u64 s[0:1], s[2:3], s[16:17]
	s_delay_alu instid0(SALU_CYCLE_1) | instskip(NEXT) | instid1(SALU_CYCLE_1)
	s_lshl_b64 s[0:1], s[0:1], 4
	s_add_nc_u64 s[0:1], s[6:7], s[0:1]
	global_store_b128 v0, v[6:9], s[0:1] scale_offset
.LBB2_56:
	s_endpgm
	.section	.rodata,"a",@progbits
	.p2align	6, 0x0
	.amdhsa_kernel _ZL35rocblas_iamax_iamin_kernel_part1_64ILi1024E26rocblas_fetch_amax_amin_64IdE22rocblas_reduce_amax_64PKd24rocblas_index_64_value_tIdEEvlT2_lllPT3_
		.amdhsa_group_segment_fixed_size 512
		.amdhsa_private_segment_fixed_size 0
		.amdhsa_kernarg_size 304
		.amdhsa_user_sgpr_count 2
		.amdhsa_user_sgpr_dispatch_ptr 0
		.amdhsa_user_sgpr_queue_ptr 0
		.amdhsa_user_sgpr_kernarg_segment_ptr 1
		.amdhsa_user_sgpr_dispatch_id 0
		.amdhsa_user_sgpr_kernarg_preload_length 0
		.amdhsa_user_sgpr_kernarg_preload_offset 0
		.amdhsa_user_sgpr_private_segment_size 0
		.amdhsa_wavefront_size32 1
		.amdhsa_uses_dynamic_stack 0
		.amdhsa_enable_private_segment 0
		.amdhsa_system_sgpr_workgroup_id_x 1
		.amdhsa_system_sgpr_workgroup_id_y 0
		.amdhsa_system_sgpr_workgroup_id_z 1
		.amdhsa_system_sgpr_workgroup_info 0
		.amdhsa_system_vgpr_workitem_id 0
		.amdhsa_next_free_vgpr 30
		.amdhsa_next_free_sgpr 22
		.amdhsa_named_barrier_count 0
		.amdhsa_reserve_vcc 1
		.amdhsa_float_round_mode_32 0
		.amdhsa_float_round_mode_16_64 0
		.amdhsa_float_denorm_mode_32 3
		.amdhsa_float_denorm_mode_16_64 3
		.amdhsa_fp16_overflow 0
		.amdhsa_memory_ordered 1
		.amdhsa_forward_progress 1
		.amdhsa_inst_pref_size 18
		.amdhsa_round_robin_scheduling 0
		.amdhsa_exception_fp_ieee_invalid_op 0
		.amdhsa_exception_fp_denorm_src 0
		.amdhsa_exception_fp_ieee_div_zero 0
		.amdhsa_exception_fp_ieee_overflow 0
		.amdhsa_exception_fp_ieee_underflow 0
		.amdhsa_exception_fp_ieee_inexact 0
		.amdhsa_exception_int_div_zero 0
	.end_amdhsa_kernel
	.section	.text._ZL35rocblas_iamax_iamin_kernel_part1_64ILi1024E26rocblas_fetch_amax_amin_64IdE22rocblas_reduce_amax_64PKd24rocblas_index_64_value_tIdEEvlT2_lllPT3_,"axG",@progbits,_ZL35rocblas_iamax_iamin_kernel_part1_64ILi1024E26rocblas_fetch_amax_amin_64IdE22rocblas_reduce_amax_64PKd24rocblas_index_64_value_tIdEEvlT2_lllPT3_,comdat
.Lfunc_end2:
	.size	_ZL35rocblas_iamax_iamin_kernel_part1_64ILi1024E26rocblas_fetch_amax_amin_64IdE22rocblas_reduce_amax_64PKd24rocblas_index_64_value_tIdEEvlT2_lllPT3_, .Lfunc_end2-_ZL35rocblas_iamax_iamin_kernel_part1_64ILi1024E26rocblas_fetch_amax_amin_64IdE22rocblas_reduce_amax_64PKd24rocblas_index_64_value_tIdEEvlT2_lllPT3_
                                        ; -- End function
	.set _ZL35rocblas_iamax_iamin_kernel_part1_64ILi1024E26rocblas_fetch_amax_amin_64IdE22rocblas_reduce_amax_64PKd24rocblas_index_64_value_tIdEEvlT2_lllPT3_.num_vgpr, 30
	.set _ZL35rocblas_iamax_iamin_kernel_part1_64ILi1024E26rocblas_fetch_amax_amin_64IdE22rocblas_reduce_amax_64PKd24rocblas_index_64_value_tIdEEvlT2_lllPT3_.num_agpr, 0
	.set _ZL35rocblas_iamax_iamin_kernel_part1_64ILi1024E26rocblas_fetch_amax_amin_64IdE22rocblas_reduce_amax_64PKd24rocblas_index_64_value_tIdEEvlT2_lllPT3_.numbered_sgpr, 22
	.set _ZL35rocblas_iamax_iamin_kernel_part1_64ILi1024E26rocblas_fetch_amax_amin_64IdE22rocblas_reduce_amax_64PKd24rocblas_index_64_value_tIdEEvlT2_lllPT3_.num_named_barrier, 0
	.set _ZL35rocblas_iamax_iamin_kernel_part1_64ILi1024E26rocblas_fetch_amax_amin_64IdE22rocblas_reduce_amax_64PKd24rocblas_index_64_value_tIdEEvlT2_lllPT3_.private_seg_size, 0
	.set _ZL35rocblas_iamax_iamin_kernel_part1_64ILi1024E26rocblas_fetch_amax_amin_64IdE22rocblas_reduce_amax_64PKd24rocblas_index_64_value_tIdEEvlT2_lllPT3_.uses_vcc, 1
	.set _ZL35rocblas_iamax_iamin_kernel_part1_64ILi1024E26rocblas_fetch_amax_amin_64IdE22rocblas_reduce_amax_64PKd24rocblas_index_64_value_tIdEEvlT2_lllPT3_.uses_flat_scratch, 0
	.set _ZL35rocblas_iamax_iamin_kernel_part1_64ILi1024E26rocblas_fetch_amax_amin_64IdE22rocblas_reduce_amax_64PKd24rocblas_index_64_value_tIdEEvlT2_lllPT3_.has_dyn_sized_stack, 0
	.set _ZL35rocblas_iamax_iamin_kernel_part1_64ILi1024E26rocblas_fetch_amax_amin_64IdE22rocblas_reduce_amax_64PKd24rocblas_index_64_value_tIdEEvlT2_lllPT3_.has_recursion, 0
	.set _ZL35rocblas_iamax_iamin_kernel_part1_64ILi1024E26rocblas_fetch_amax_amin_64IdE22rocblas_reduce_amax_64PKd24rocblas_index_64_value_tIdEEvlT2_lllPT3_.has_indirect_call, 0
	.section	.AMDGPU.csdata,"",@progbits
; Kernel info:
; codeLenInByte = 2240
; TotalNumSgprs: 24
; NumVgprs: 30
; ScratchSize: 0
; MemoryBound: 0
; FloatMode: 240
; IeeeMode: 1
; LDSByteSize: 512 bytes/workgroup (compile time only)
; SGPRBlocks: 0
; VGPRBlocks: 1
; NumSGPRsForWavesPerEU: 24
; NumVGPRsForWavesPerEU: 30
; NamedBarCnt: 0
; Occupancy: 16
; WaveLimiterHint : 0
; COMPUTE_PGM_RSRC2:SCRATCH_EN: 0
; COMPUTE_PGM_RSRC2:USER_SGPR: 2
; COMPUTE_PGM_RSRC2:TRAP_HANDLER: 0
; COMPUTE_PGM_RSRC2:TGID_X_EN: 1
; COMPUTE_PGM_RSRC2:TGID_Y_EN: 0
; COMPUTE_PGM_RSRC2:TGID_Z_EN: 1
; COMPUTE_PGM_RSRC2:TIDIG_COMP_CNT: 0
	.section	.text._ZL35rocblas_iamax_iamin_kernel_part2_64ILi1024E22rocblas_reduce_amax_6424rocblas_index_64_value_tIdElEviPT1_PT2_,"axG",@progbits,_ZL35rocblas_iamax_iamin_kernel_part2_64ILi1024E22rocblas_reduce_amax_6424rocblas_index_64_value_tIdElEviPT1_PT2_,comdat
	.globl	_ZL35rocblas_iamax_iamin_kernel_part2_64ILi1024E22rocblas_reduce_amax_6424rocblas_index_64_value_tIdElEviPT1_PT2_ ; -- Begin function _ZL35rocblas_iamax_iamin_kernel_part2_64ILi1024E22rocblas_reduce_amax_6424rocblas_index_64_value_tIdElEviPT1_PT2_
	.p2align	8
	.type	_ZL35rocblas_iamax_iamin_kernel_part2_64ILi1024E22rocblas_reduce_amax_6424rocblas_index_64_value_tIdElEviPT1_PT2_,@function
_ZL35rocblas_iamax_iamin_kernel_part2_64ILi1024E22rocblas_reduce_amax_6424rocblas_index_64_value_tIdElEviPT1_PT2_: ; @_ZL35rocblas_iamax_iamin_kernel_part2_64ILi1024E22rocblas_reduce_amax_6424rocblas_index_64_value_tIdElEviPT1_PT2_
; %bb.0:
	s_clause 0x1
	s_load_b32 s2, s[0:1], 0x0
	s_load_b128 s[4:7], s[0:1], 0x8
	v_mov_b64_e32 v[2:3], 0
	s_getreg_b32 s8, hwreg(HW_REG_IB_STS2, 6, 4)
	s_mov_b32 s9, exec_lo
	s_wait_kmcnt 0x0
	v_cmpx_gt_i32_e64 s2, v0
	s_cbranch_execz .LBB3_10
; %bb.1:
	s_bfe_u32 s0, ttmp6, 0x4000c
	s_and_b32 s1, ttmp6, 15
	s_add_co_i32 s0, s0, 1
	s_mov_b32 s3, 0
	s_mul_i32 s0, ttmp9, s0
	v_or_b32_e32 v1, 0x400, v0
	s_add_co_i32 s1, s1, s0
	s_cmp_eq_u32 s8, 0
	s_cselect_b32 s0, ttmp9, s1
	s_mov_b32 s1, s3
	s_delay_alu instid0(SALU_CYCLE_1) | instskip(NEXT) | instid1(SALU_CYCLE_1)
	s_mul_u64 s[0:1], s[2:3], s[0:1]
	s_lshl_b64 s[0:1], s[0:1], 4
	s_delay_alu instid0(SALU_CYCLE_1)
	s_add_nc_u64 s[0:1], s[4:5], s[0:1]
	s_mov_b32 s4, exec_lo
	global_load_b128 v[2:5], v0, s[0:1] scale_offset
	s_wait_xcnt 0x0
	v_cmpx_gt_u32_e64 s2, v1
	s_cbranch_execz .LBB3_9
; %bb.2:
	v_dual_mov_b32 v7, 0 :: v_dual_lshlrev_b32 v6, 4, v0
	s_delay_alu instid0(VALU_DEP_1) | instskip(NEXT) | instid1(VALU_DEP_1)
	v_add_nc_u64_e32 v[6:7], s[0:1], v[6:7]
	v_add_nc_u64_e32 v[6:7], 0x4000, v[6:7]
	s_branch .LBB3_5
.LBB3_3:                                ;   in Loop: Header=BB3_5 Depth=1
	s_or_b32 exec_lo, exec_lo, s0
	s_delay_alu instid0(VALU_DEP_1) | instskip(NEXT) | instid1(VALU_DEP_3)
	v_mov_b64_e32 v[2:3], v[8:9]
	v_mov_b64_e32 v[4:5], v[10:11]
.LBB3_4:                                ;   in Loop: Header=BB3_5 Depth=1
	s_or_b32 exec_lo, exec_lo, s1
	v_add_nc_u32_e32 v1, 0x400, v1
	v_add_nc_u64_e32 v[6:7], 0x4000, v[6:7]
	s_delay_alu instid0(VALU_DEP_2) | instskip(SKIP_1) | instid1(SALU_CYCLE_1)
	v_cmp_le_i32_e32 vcc_lo, s2, v1
	s_or_b32 s3, vcc_lo, s3
	s_and_not1_b32 exec_lo, exec_lo, s3
	s_cbranch_execz .LBB3_8
.LBB3_5:                                ; =>This Inner Loop Header: Depth=1
	global_load_b64 v[8:9], v[6:7], off
	s_mov_b32 s1, exec_lo
	s_wait_loadcnt 0x0
	v_cmpx_ne_u64_e32 0, v[8:9]
	s_cbranch_execz .LBB3_4
; %bb.6:                                ;   in Loop: Header=BB3_5 Depth=1
	global_load_b64 v[10:11], v[6:7], off offset:8
	v_cmp_ne_u64_e64 s0, 0, v[2:3]
	s_wait_loadcnt 0x0
	v_cmp_ngt_f64_e32 vcc_lo, v[10:11], v[4:5]
	s_and_b32 s5, s0, vcc_lo
	s_delay_alu instid0(SALU_CYCLE_1)
	s_and_saveexec_b32 s0, s5
	s_cbranch_execz .LBB3_3
; %bb.7:                                ;   in Loop: Header=BB3_5 Depth=1
	v_min_i64 v[8:9], v[8:9], v[2:3]
	v_cmp_eq_f64_e32 vcc_lo, v[4:5], v[10:11]
	v_mov_b64_e32 v[10:11], v[4:5]
	s_delay_alu instid0(VALU_DEP_3)
	v_dual_cndmask_b32 v9, v3, v9 :: v_dual_cndmask_b32 v8, v2, v8
	s_branch .LBB3_3
.LBB3_8:
	s_or_b32 exec_lo, exec_lo, s3
.LBB3_9:
	s_delay_alu instid0(SALU_CYCLE_1)
	s_or_b32 exec_lo, exec_lo, s4
.LBB3_10:
	s_delay_alu instid0(SALU_CYCLE_1) | instskip(SKIP_2) | instid1(VALU_DEP_2)
	s_or_b32 exec_lo, exec_lo, s9
	v_and_b32_e32 v19, 31, v0
	v_cmp_gt_u32_e32 vcc_lo, 32, v0
	v_lshlrev_b32_e32 v14, 4, v19
	s_and_saveexec_b32 s0, vcc_lo
	s_cbranch_execz .LBB3_12
; %bb.11:
	v_mov_b32_e32 v6, 0
	s_delay_alu instid0(VALU_DEP_1)
	v_dual_mov_b32 v7, v6 :: v_dual_mov_b32 v8, v6
	v_mov_b32_e32 v9, v6
	ds_store_b128 v14, v[6:9]
.LBB3_12:
	s_or_b32 exec_lo, exec_lo, s0
	v_mbcnt_lo_u32_b32 v18, -1, 0
	s_wait_loadcnt 0x0
	v_mov_b64_e32 v[6:7], v[4:5]
	s_mov_b32 s2, exec_lo
	s_wait_dscnt 0x0
	s_barrier_signal -1
	v_lshl_or_b32 v1, v18, 2, 64
	s_barrier_wait -1
	ds_bpermute_b32 v8, v1, v2
	ds_bpermute_b32 v9, v1, v3
	;; [unrolled: 1-line block ×4, first 2 shown]
	s_wait_dscnt 0x2
	v_cmpx_ne_u64_e32 0, v[8:9]
	s_cbranch_execz .LBB3_16
; %bb.13:
	s_wait_dscnt 0x0
	v_cmp_nlt_f64_e64 s0, v[4:5], v[10:11]
	v_cmp_ne_u64_e64 s1, 0, v[2:3]
	v_mov_b64_e32 v[6:7], v[10:11]
	s_and_b32 s0, s1, s0
	s_delay_alu instid0(SALU_CYCLE_1)
	s_and_saveexec_b32 s1, s0
	s_cbranch_execz .LBB3_15
; %bb.14:
	v_min_i64 v[8:9], v[8:9], v[2:3]
	v_cmp_eq_f64_e64 s0, v[4:5], v[10:11]
	v_mov_b64_e32 v[6:7], v[4:5]
	v_dual_mov_b32 v10, v4 :: v_dual_mov_b32 v11, v5
	s_delay_alu instid0(VALU_DEP_3)
	v_dual_cndmask_b32 v8, v2, v8, s0 :: v_dual_cndmask_b32 v9, v3, v9, s0
.LBB3_15:
	s_or_b32 exec_lo, exec_lo, s1
	s_delay_alu instid0(VALU_DEP_1) | instskip(NEXT) | instid1(VALU_DEP_3)
	v_mov_b64_e32 v[2:3], v[8:9]
	v_dual_mov_b32 v5, v11 :: v_dual_mov_b32 v4, v10
.LBB3_16:
	s_or_b32 exec_lo, exec_lo, s2
	v_cmp_gt_u32_e64 s0, 24, v18
	s_mov_b32 s2, exec_lo
	v_cndmask_b32_e64 v8, 0, 8, s0
	s_delay_alu instid0(VALU_DEP_1)
	v_add_lshl_u32 v15, v8, v18, 2
	ds_bpermute_b32 v8, v15, v2
	ds_bpermute_b32 v9, v15, v3
	s_wait_dscnt 0x3
	ds_bpermute_b32 v10, v15, v4
	s_wait_dscnt 0x3
	ds_bpermute_b32 v11, v15, v5
	s_wait_dscnt 0x2
	v_cmpx_ne_u64_e32 0, v[8:9]
	s_cbranch_execz .LBB3_20
; %bb.17:
	s_wait_dscnt 0x0
	v_cmp_nlt_f64_e64 s0, v[6:7], v[10:11]
	v_cmp_ne_u64_e64 s1, 0, v[2:3]
	v_mov_b64_e32 v[12:13], v[10:11]
	s_and_b32 s0, s1, s0
	s_delay_alu instid0(SALU_CYCLE_1)
	s_and_saveexec_b32 s1, s0
	s_cbranch_execz .LBB3_19
; %bb.18:
	v_min_i64 v[8:9], v[8:9], v[2:3]
	v_cmp_eq_f64_e64 s0, v[6:7], v[10:11]
	v_mov_b64_e32 v[12:13], v[6:7]
	v_dual_mov_b32 v10, v4 :: v_dual_mov_b32 v11, v5
	s_delay_alu instid0(VALU_DEP_3)
	v_dual_cndmask_b32 v8, v2, v8, s0 :: v_dual_cndmask_b32 v9, v3, v9, s0
.LBB3_19:
	s_or_b32 exec_lo, exec_lo, s1
	s_delay_alu instid0(VALU_DEP_1) | instskip(NEXT) | instid1(VALU_DEP_2)
	v_mov_b64_e32 v[2:3], v[8:9]
	v_mov_b64_e32 v[6:7], v[12:13]
	v_dual_mov_b32 v5, v11 :: v_dual_mov_b32 v4, v10
.LBB3_20:
	s_or_b32 exec_lo, exec_lo, s2
	v_cmp_gt_u32_e64 s0, 28, v18
	s_mov_b32 s2, exec_lo
	v_cndmask_b32_e64 v8, 0, 4, s0
	s_delay_alu instid0(VALU_DEP_1)
	v_add_lshl_u32 v16, v8, v18, 2
	ds_bpermute_b32 v8, v16, v2
	ds_bpermute_b32 v9, v16, v3
	s_wait_dscnt 0x3
	ds_bpermute_b32 v10, v16, v4
	s_wait_dscnt 0x3
	ds_bpermute_b32 v11, v16, v5
	s_wait_dscnt 0x2
	v_cmpx_ne_u64_e32 0, v[8:9]
	s_cbranch_execz .LBB3_24
; %bb.21:
	s_wait_dscnt 0x0
	v_cmp_nlt_f64_e64 s0, v[6:7], v[10:11]
	v_cmp_ne_u64_e64 s1, 0, v[2:3]
	v_mov_b64_e32 v[12:13], v[10:11]
	s_and_b32 s0, s1, s0
	s_delay_alu instid0(SALU_CYCLE_1)
	s_and_saveexec_b32 s1, s0
	s_cbranch_execz .LBB3_23
; %bb.22:
	v_min_i64 v[8:9], v[8:9], v[2:3]
	v_cmp_eq_f64_e64 s0, v[6:7], v[10:11]
	v_mov_b64_e32 v[12:13], v[6:7]
	v_dual_mov_b32 v10, v4 :: v_dual_mov_b32 v11, v5
	s_delay_alu instid0(VALU_DEP_3)
	v_dual_cndmask_b32 v8, v2, v8, s0 :: v_dual_cndmask_b32 v9, v3, v9, s0
.LBB3_23:
	s_or_b32 exec_lo, exec_lo, s1
	s_delay_alu instid0(VALU_DEP_1) | instskip(NEXT) | instid1(VALU_DEP_2)
	v_mov_b64_e32 v[2:3], v[8:9]
	v_mov_b64_e32 v[6:7], v[12:13]
	v_dual_mov_b32 v5, v11 :: v_dual_mov_b32 v4, v10
.LBB3_24:
	;; [unrolled: 38-line block ×3, first 2 shown]
	s_or_b32 exec_lo, exec_lo, s2
	v_cmp_ne_u32_e64 s0, 31, v18
	s_mov_b32 s3, exec_lo
	v_add_co_ci_u32_e64 v8, null, 0, v18, s0
	s_delay_alu instid0(VALU_DEP_1)
	v_lshlrev_b32_e32 v18, 2, v8
	ds_bpermute_b32 v8, v18, v2
	ds_bpermute_b32 v9, v18, v3
	;; [unrolled: 1-line block ×3, first 2 shown]
	s_wait_dscnt 0x4
	ds_bpermute_b32 v10, v18, v5
	s_wait_dscnt 0x2
	v_cmpx_ne_u64_e32 0, v[8:9]
	s_cbranch_execz .LBB3_30
; %bb.29:
	v_min_i64 v[12:13], v[8:9], v[2:3]
	s_wait_dscnt 0x0
	v_mov_b32_e32 v5, v10
	v_cmp_eq_u64_e64 s2, 0, v[2:3]
	s_delay_alu instid0(VALU_DEP_2) | instskip(NEXT) | instid1(VALU_DEP_1)
	v_cmp_eq_f64_e64 s0, v[6:7], v[4:5]
	v_cndmask_b32_e64 v3, v3, v13, s0
	v_cmp_lt_f64_e64 s1, v[6:7], v[4:5]
	v_cndmask_b32_e64 v2, v2, v12, s0
	s_or_b32 s0, s2, s1
	s_delay_alu instid0(VALU_DEP_1) | instid1(SALU_CYCLE_1)
	v_dual_cndmask_b32 v3, v3, v9, s0 :: v_dual_cndmask_b32 v2, v2, v8, s0
	v_dual_cndmask_b32 v7, v7, v10, s0 :: v_dual_cndmask_b32 v6, v6, v4, s0
.LBB3_30:
	s_or_b32 exec_lo, exec_lo, s3
	s_delay_alu instid0(SALU_CYCLE_1)
	s_mov_b32 s1, exec_lo
	v_cmpx_eq_u32_e32 0, v19
	s_cbranch_execz .LBB3_32
; %bb.31:
	s_wait_dscnt 0x1
	v_dual_mov_b32 v4, v6 :: v_dual_lshrrev_b32 v5, 1, v0
	s_delay_alu instid0(VALU_DEP_1)
	v_and_b32_e32 v6, 0x1f0, v5
	v_mov_b32_e32 v5, v7
	ds_store_b128 v6, v[2:5]
.LBB3_32:
	s_or_b32 exec_lo, exec_lo, s1
	s_wait_dscnt 0x1
	v_mov_b64_e32 v[4:5], 0
	v_mov_b64_e32 v[2:3], 0
	s_wait_dscnt 0x0
	s_barrier_signal -1
	s_barrier_wait -1
	s_and_saveexec_b32 s0, vcc_lo
; %bb.33:
	ds_load_b128 v[2:5], v14
; %bb.34:
	s_or_b32 exec_lo, exec_lo, s0
	s_and_saveexec_b32 s2, vcc_lo
	s_cbranch_execz .LBB3_54
; %bb.35:
	s_wait_dscnt 0x0
	ds_bpermute_b32 v8, v1, v2
	ds_bpermute_b32 v9, v1, v3
	;; [unrolled: 1-line block ×4, first 2 shown]
	v_mov_b64_e32 v[6:7], v[4:5]
	s_mov_b32 s1, exec_lo
	s_wait_dscnt 0x2
	v_cmpx_ne_u64_e32 0, v[8:9]
	s_cbranch_execz .LBB3_39
; %bb.36:
	s_wait_dscnt 0x0
	v_cmp_nlt_f64_e32 vcc_lo, v[4:5], v[10:11]
	v_cmp_ne_u64_e64 s0, 0, v[2:3]
	v_mov_b64_e32 v[6:7], v[10:11]
	s_and_b32 s3, s0, vcc_lo
	s_delay_alu instid0(SALU_CYCLE_1)
	s_and_saveexec_b32 s0, s3
	s_cbranch_execz .LBB3_38
; %bb.37:
	v_min_i64 v[8:9], v[8:9], v[2:3]
	v_cmp_eq_f64_e32 vcc_lo, v[4:5], v[10:11]
	v_mov_b64_e32 v[6:7], v[4:5]
	v_dual_mov_b32 v10, v4 :: v_dual_mov_b32 v11, v5
	s_delay_alu instid0(VALU_DEP_4)
	v_dual_cndmask_b32 v8, v2, v8 :: v_dual_cndmask_b32 v9, v3, v9
.LBB3_38:
	s_or_b32 exec_lo, exec_lo, s0
	s_delay_alu instid0(VALU_DEP_1) | instskip(NEXT) | instid1(VALU_DEP_3)
	v_mov_b64_e32 v[2:3], v[8:9]
	v_dual_mov_b32 v5, v11 :: v_dual_mov_b32 v4, v10
.LBB3_39:
	s_or_b32 exec_lo, exec_lo, s1
	ds_bpermute_b32 v8, v15, v2
	ds_bpermute_b32 v9, v15, v3
	s_wait_dscnt 0x3
	ds_bpermute_b32 v10, v15, v4
	s_wait_dscnt 0x3
	ds_bpermute_b32 v11, v15, v5
	s_mov_b32 s1, exec_lo
	s_wait_dscnt 0x2
	v_cmpx_ne_u64_e32 0, v[8:9]
	s_cbranch_execz .LBB3_43
; %bb.40:
	s_wait_dscnt 0x0
	v_cmp_nlt_f64_e32 vcc_lo, v[6:7], v[10:11]
	v_cmp_ne_u64_e64 s0, 0, v[2:3]
	v_mov_b64_e32 v[12:13], v[10:11]
	s_and_b32 s3, s0, vcc_lo
	s_delay_alu instid0(SALU_CYCLE_1)
	s_and_saveexec_b32 s0, s3
	s_cbranch_execz .LBB3_42
; %bb.41:
	v_min_i64 v[8:9], v[8:9], v[2:3]
	v_cmp_eq_f64_e32 vcc_lo, v[6:7], v[10:11]
	v_mov_b64_e32 v[12:13], v[6:7]
	v_dual_mov_b32 v10, v4 :: v_dual_mov_b32 v11, v5
	s_delay_alu instid0(VALU_DEP_4)
	v_dual_cndmask_b32 v8, v2, v8 :: v_dual_cndmask_b32 v9, v3, v9
.LBB3_42:
	s_or_b32 exec_lo, exec_lo, s0
	s_delay_alu instid0(VALU_DEP_1) | instskip(NEXT) | instid1(VALU_DEP_2)
	v_mov_b64_e32 v[2:3], v[8:9]
	v_mov_b64_e32 v[6:7], v[12:13]
	v_dual_mov_b32 v5, v11 :: v_dual_mov_b32 v4, v10
.LBB3_43:
	s_or_b32 exec_lo, exec_lo, s1
	ds_bpermute_b32 v8, v16, v2
	ds_bpermute_b32 v9, v16, v3
	s_wait_dscnt 0x3
	ds_bpermute_b32 v10, v16, v4
	s_wait_dscnt 0x3
	ds_bpermute_b32 v11, v16, v5
	s_mov_b32 s1, exec_lo
	s_wait_dscnt 0x2
	v_cmpx_ne_u64_e32 0, v[8:9]
	s_cbranch_execz .LBB3_47
; %bb.44:
	s_wait_dscnt 0x0
	v_cmp_nlt_f64_e32 vcc_lo, v[6:7], v[10:11]
	v_cmp_ne_u64_e64 s0, 0, v[2:3]
	v_mov_b64_e32 v[12:13], v[10:11]
	s_and_b32 s3, s0, vcc_lo
	s_delay_alu instid0(SALU_CYCLE_1)
	s_and_saveexec_b32 s0, s3
	s_cbranch_execz .LBB3_46
; %bb.45:
	v_min_i64 v[8:9], v[8:9], v[2:3]
	v_cmp_eq_f64_e32 vcc_lo, v[6:7], v[10:11]
	v_mov_b64_e32 v[12:13], v[6:7]
	v_dual_mov_b32 v10, v4 :: v_dual_mov_b32 v11, v5
	s_delay_alu instid0(VALU_DEP_4)
	v_dual_cndmask_b32 v8, v2, v8 :: v_dual_cndmask_b32 v9, v3, v9
.LBB3_46:
	s_or_b32 exec_lo, exec_lo, s0
	s_delay_alu instid0(VALU_DEP_1) | instskip(NEXT) | instid1(VALU_DEP_2)
	v_mov_b64_e32 v[2:3], v[8:9]
	v_mov_b64_e32 v[6:7], v[12:13]
	v_dual_mov_b32 v5, v11 :: v_dual_mov_b32 v4, v10
.LBB3_47:
	;; [unrolled: 34-line block ×3, first 2 shown]
	s_or_b32 exec_lo, exec_lo, s1
	ds_bpermute_b32 v8, v18, v2
	ds_bpermute_b32 v9, v18, v3
	;; [unrolled: 1-line block ×4, first 2 shown]
	s_mov_b32 s3, exec_lo
	s_wait_dscnt 0x2
	v_cmpx_ne_u64_e32 0, v[8:9]
	s_cbranch_execz .LBB3_53
; %bb.52:
	v_min_i64 v[10:11], v[8:9], v[2:3]
	s_wait_dscnt 0x0
	v_cmp_eq_f64_e32 vcc_lo, v[6:7], v[4:5]
	v_cmp_lt_f64_e64 s0, v[6:7], v[4:5]
	v_cmp_eq_u64_e64 s1, 0, v[2:3]
	s_delay_alu instid0(VALU_DEP_4) | instskip(SKIP_1) | instid1(VALU_DEP_1)
	v_dual_cndmask_b32 v1, v2, v10 :: v_dual_cndmask_b32 v2, v3, v11
	s_or_b32 vcc_lo, s1, s0
	v_dual_cndmask_b32 v3, v2, v9 :: v_dual_cndmask_b32 v2, v1, v8
.LBB3_53:
	s_or_b32 exec_lo, exec_lo, s3
.LBB3_54:
	s_delay_alu instid0(SALU_CYCLE_1) | instskip(NEXT) | instid1(SALU_CYCLE_1)
	s_or_b32 exec_lo, exec_lo, s2
	s_mov_b32 s0, exec_lo
	v_cmpx_eq_u32_e32 0, v0
	s_cbranch_execz .LBB3_56
; %bb.55:
	s_bfe_u32 s0, ttmp6, 0x4000c
	s_and_b32 s1, ttmp6, 15
	s_add_co_i32 s0, s0, 1
	s_delay_alu instid0(SALU_CYCLE_1) | instskip(NEXT) | instid1(SALU_CYCLE_1)
	s_mul_i32 s0, ttmp9, s0
	s_add_co_i32 s1, s1, s0
	s_cmp_eq_u32 s8, 0
	s_cselect_b32 s0, ttmp9, s1
	s_delay_alu instid0(SALU_CYCLE_1)
	v_mov_b32_e32 v0, s0
	s_wait_dscnt 0x0
	global_store_b64 v0, v[2:3], s[6:7] scale_offset
.LBB3_56:
	s_endpgm
	.section	.rodata,"a",@progbits
	.p2align	6, 0x0
	.amdhsa_kernel _ZL35rocblas_iamax_iamin_kernel_part2_64ILi1024E22rocblas_reduce_amax_6424rocblas_index_64_value_tIdElEviPT1_PT2_
		.amdhsa_group_segment_fixed_size 512
		.amdhsa_private_segment_fixed_size 0
		.amdhsa_kernarg_size 24
		.amdhsa_user_sgpr_count 2
		.amdhsa_user_sgpr_dispatch_ptr 0
		.amdhsa_user_sgpr_queue_ptr 0
		.amdhsa_user_sgpr_kernarg_segment_ptr 1
		.amdhsa_user_sgpr_dispatch_id 0
		.amdhsa_user_sgpr_kernarg_preload_length 0
		.amdhsa_user_sgpr_kernarg_preload_offset 0
		.amdhsa_user_sgpr_private_segment_size 0
		.amdhsa_wavefront_size32 1
		.amdhsa_uses_dynamic_stack 0
		.amdhsa_enable_private_segment 0
		.amdhsa_system_sgpr_workgroup_id_x 1
		.amdhsa_system_sgpr_workgroup_id_y 0
		.amdhsa_system_sgpr_workgroup_id_z 0
		.amdhsa_system_sgpr_workgroup_info 0
		.amdhsa_system_vgpr_workitem_id 0
		.amdhsa_next_free_vgpr 20
		.amdhsa_next_free_sgpr 10
		.amdhsa_named_barrier_count 0
		.amdhsa_reserve_vcc 1
		.amdhsa_float_round_mode_32 0
		.amdhsa_float_round_mode_16_64 0
		.amdhsa_float_denorm_mode_32 3
		.amdhsa_float_denorm_mode_16_64 3
		.amdhsa_fp16_overflow 0
		.amdhsa_memory_ordered 1
		.amdhsa_forward_progress 1
		.amdhsa_inst_pref_size 18
		.amdhsa_round_robin_scheduling 0
		.amdhsa_exception_fp_ieee_invalid_op 0
		.amdhsa_exception_fp_denorm_src 0
		.amdhsa_exception_fp_ieee_div_zero 0
		.amdhsa_exception_fp_ieee_overflow 0
		.amdhsa_exception_fp_ieee_underflow 0
		.amdhsa_exception_fp_ieee_inexact 0
		.amdhsa_exception_int_div_zero 0
	.end_amdhsa_kernel
	.section	.text._ZL35rocblas_iamax_iamin_kernel_part2_64ILi1024E22rocblas_reduce_amax_6424rocblas_index_64_value_tIdElEviPT1_PT2_,"axG",@progbits,_ZL35rocblas_iamax_iamin_kernel_part2_64ILi1024E22rocblas_reduce_amax_6424rocblas_index_64_value_tIdElEviPT1_PT2_,comdat
.Lfunc_end3:
	.size	_ZL35rocblas_iamax_iamin_kernel_part2_64ILi1024E22rocblas_reduce_amax_6424rocblas_index_64_value_tIdElEviPT1_PT2_, .Lfunc_end3-_ZL35rocblas_iamax_iamin_kernel_part2_64ILi1024E22rocblas_reduce_amax_6424rocblas_index_64_value_tIdElEviPT1_PT2_
                                        ; -- End function
	.set _ZL35rocblas_iamax_iamin_kernel_part2_64ILi1024E22rocblas_reduce_amax_6424rocblas_index_64_value_tIdElEviPT1_PT2_.num_vgpr, 20
	.set _ZL35rocblas_iamax_iamin_kernel_part2_64ILi1024E22rocblas_reduce_amax_6424rocblas_index_64_value_tIdElEviPT1_PT2_.num_agpr, 0
	.set _ZL35rocblas_iamax_iamin_kernel_part2_64ILi1024E22rocblas_reduce_amax_6424rocblas_index_64_value_tIdElEviPT1_PT2_.numbered_sgpr, 10
	.set _ZL35rocblas_iamax_iamin_kernel_part2_64ILi1024E22rocblas_reduce_amax_6424rocblas_index_64_value_tIdElEviPT1_PT2_.num_named_barrier, 0
	.set _ZL35rocblas_iamax_iamin_kernel_part2_64ILi1024E22rocblas_reduce_amax_6424rocblas_index_64_value_tIdElEviPT1_PT2_.private_seg_size, 0
	.set _ZL35rocblas_iamax_iamin_kernel_part2_64ILi1024E22rocblas_reduce_amax_6424rocblas_index_64_value_tIdElEviPT1_PT2_.uses_vcc, 1
	.set _ZL35rocblas_iamax_iamin_kernel_part2_64ILi1024E22rocblas_reduce_amax_6424rocblas_index_64_value_tIdElEviPT1_PT2_.uses_flat_scratch, 0
	.set _ZL35rocblas_iamax_iamin_kernel_part2_64ILi1024E22rocblas_reduce_amax_6424rocblas_index_64_value_tIdElEviPT1_PT2_.has_dyn_sized_stack, 0
	.set _ZL35rocblas_iamax_iamin_kernel_part2_64ILi1024E22rocblas_reduce_amax_6424rocblas_index_64_value_tIdElEviPT1_PT2_.has_recursion, 0
	.set _ZL35rocblas_iamax_iamin_kernel_part2_64ILi1024E22rocblas_reduce_amax_6424rocblas_index_64_value_tIdElEviPT1_PT2_.has_indirect_call, 0
	.section	.AMDGPU.csdata,"",@progbits
; Kernel info:
; codeLenInByte = 2276
; TotalNumSgprs: 12
; NumVgprs: 20
; ScratchSize: 0
; MemoryBound: 0
; FloatMode: 240
; IeeeMode: 1
; LDSByteSize: 512 bytes/workgroup (compile time only)
; SGPRBlocks: 0
; VGPRBlocks: 1
; NumSGPRsForWavesPerEU: 12
; NumVGPRsForWavesPerEU: 20
; NamedBarCnt: 0
; Occupancy: 16
; WaveLimiterHint : 0
; COMPUTE_PGM_RSRC2:SCRATCH_EN: 0
; COMPUTE_PGM_RSRC2:USER_SGPR: 2
; COMPUTE_PGM_RSRC2:TRAP_HANDLER: 0
; COMPUTE_PGM_RSRC2:TGID_X_EN: 1
; COMPUTE_PGM_RSRC2:TGID_Y_EN: 0
; COMPUTE_PGM_RSRC2:TGID_Z_EN: 0
; COMPUTE_PGM_RSRC2:TIDIG_COMP_CNT: 0
	.section	.text._ZL35rocblas_iamax_iamin_kernel_part1_64ILi1024E26rocblas_fetch_amax_amin_64IfE22rocblas_reduce_amax_64PK19rocblas_complex_numIfE24rocblas_index_64_value_tIfEEvlT2_lllPT3_,"axG",@progbits,_ZL35rocblas_iamax_iamin_kernel_part1_64ILi1024E26rocblas_fetch_amax_amin_64IfE22rocblas_reduce_amax_64PK19rocblas_complex_numIfE24rocblas_index_64_value_tIfEEvlT2_lllPT3_,comdat
	.globl	_ZL35rocblas_iamax_iamin_kernel_part1_64ILi1024E26rocblas_fetch_amax_amin_64IfE22rocblas_reduce_amax_64PK19rocblas_complex_numIfE24rocblas_index_64_value_tIfEEvlT2_lllPT3_ ; -- Begin function _ZL35rocblas_iamax_iamin_kernel_part1_64ILi1024E26rocblas_fetch_amax_amin_64IfE22rocblas_reduce_amax_64PK19rocblas_complex_numIfE24rocblas_index_64_value_tIfEEvlT2_lllPT3_
	.p2align	8
	.type	_ZL35rocblas_iamax_iamin_kernel_part1_64ILi1024E26rocblas_fetch_amax_amin_64IfE22rocblas_reduce_amax_64PK19rocblas_complex_numIfE24rocblas_index_64_value_tIfEEvlT2_lllPT3_,@function
_ZL35rocblas_iamax_iamin_kernel_part1_64ILi1024E26rocblas_fetch_amax_amin_64IfE22rocblas_reduce_amax_64PK19rocblas_complex_numIfE24rocblas_index_64_value_tIfEEvlT2_lllPT3_: ; @_ZL35rocblas_iamax_iamin_kernel_part1_64ILi1024E26rocblas_fetch_amax_amin_64IfE22rocblas_reduce_amax_64PK19rocblas_complex_numIfE24rocblas_index_64_value_tIfEEvlT2_lllPT3_
; %bb.0:
	s_clause 0x1
	s_load_b256 s[8:15], s[0:1], 0x0
	s_load_b128 s[4:7], s[0:1], 0x20
	s_bfe_u32 s2, ttmp6, 0x40014
	s_lshr_b32 s3, ttmp7, 16
	s_add_co_i32 s2, s2, 1
	s_bfe_u32 s17, ttmp6, 0x4000c
	s_mul_i32 s2, s3, s2
	s_bfe_u32 s16, ttmp6, 0x40008
	s_add_co_i32 s17, s17, 1
	s_add_co_i32 s2, s16, s2
	s_and_b32 s16, ttmp6, 15
	s_mul_i32 s17, ttmp9, s17
	s_getreg_b32 s18, hwreg(HW_REG_IB_STS2, 6, 4)
	s_add_co_i32 s16, s16, s17
	s_cmp_eq_u32 s18, 0
	s_cselect_b32 s16, ttmp9, s16
	s_cselect_b32 s18, s3, s2
	s_wait_kmcnt 0x0
	v_cmp_lt_i64_e64 s19, s[8:9], 1
	s_and_b32 vcc_lo, exec_lo, s19
	s_mov_b32 s19, 0
	s_cbranch_vccnz .LBB4_53
; %bb.1:
	v_lshl_or_b32 v6, s16, 10, v0
	v_dual_mov_b32 v7, 0 :: v_dual_bitop2_b32 v2, 31, v0 bitop3:0x40
	v_mbcnt_lo_u32_b32 v3, -1, 0
	s_load_b32 s17, s[0:1], 0x30
	s_mul_u64 s[4:5], s[4:5], s[18:19]
	s_delay_alu instid0(VALU_DEP_2)
	v_mul_u64_e32 v[10:11], s[14:15], v[6:7]
	v_lshlrev_b32_e32 v1, 4, v2
	v_cmp_gt_u32_e32 vcc_lo, 24, v3
	s_lshl_b64 s[12:13], s[12:13], 3
	s_lshl_b64 s[4:5], s[4:5], 3
	s_add_nc_u64 s[10:11], s[10:11], s[12:13]
	v_lshl_or_b32 v5, v3, 2, 64
	v_cndmask_b32_e64 v4, 0, 8, vcc_lo
	v_cmp_gt_u32_e32 vcc_lo, 28, v3
	v_cmp_eq_u32_e64 s3, 0, v2
	s_add_nc_u64 s[4:5], s[10:11], s[4:5]
	s_mov_b32 s21, s19
	v_add_lshl_u32 v16, v4, v3, 2
	v_cndmask_b32_e64 v8, 0, 4, vcc_lo
	v_cmp_gt_u32_e32 vcc_lo, 30, v3
	v_lshrrev_b32_e32 v4, 1, v0
	v_cmp_gt_u32_e64 s2, 32, v0
	s_mov_b64 s[12:13], 0
	v_add_lshl_u32 v17, v8, v3, 2
	v_cndmask_b32_e64 v9, 0, 2, vcc_lo
	v_cmp_ne_u32_e32 vcc_lo, 31, v3
	v_and_b32_e32 v20, 0x1f0, v4
	s_wait_kmcnt 0x0
	s_lshl_b32 s20, s17, 10
                                        ; implicit-def: $vgpr21
	v_add_lshl_u32 v18, v9, v3, 2
	v_add_co_ci_u32_e64 v12, null, 0, v3, vcc_lo
	v_cmp_ne_u32_e32 vcc_lo, 0, v0
	v_mov_b64_e32 v[8:9], 0
	v_mov_b64_e32 v[2:3], 0
	s_delay_alu instid0(VALU_DEP_4)
	v_lshlrev_b32_e32 v19, 2, v12
	s_mul_u64 s[10:11], s[14:15], s[20:21]
	v_lshl_add_u64 v[10:11], v[10:11], 3, s[4:5]
	s_lshl_b64 s[10:11], s[10:11], 3
	s_xor_b32 s14, vcc_lo, -1
	s_branch .LBB4_4
.LBB4_2:                                ;   in Loop: Header=BB4_4 Depth=1
	s_or_b32 exec_lo, exec_lo, s4
	s_delay_alu instid0(VALU_DEP_1)
	v_mov_b64_e32 v[2:3], v[12:13]
	v_mov_b32_e32 v4, v14
.LBB4_3:                                ;   in Loop: Header=BB4_4 Depth=1
	s_or_b32 exec_lo, exec_lo, s5
	s_add_nc_u64 s[12:13], s[12:13], s[20:21]
	v_add_nc_u64_e32 v[10:11], s[10:11], v[10:11]
	v_cmp_ge_i64_e64 s4, s[12:13], s[8:9]
	s_and_b32 vcc_lo, exec_lo, s4
	s_cbranch_vccnz .LBB4_54
.LBB4_4:                                ; =>This Inner Loop Header: Depth=1
	v_add_nc_u64_e32 v[14:15], s[12:13], v[6:7]
	v_mov_b64_e32 v[12:13], 0
	s_mov_b32 s4, exec_lo
	s_delay_alu instid0(VALU_DEP_2)
	v_cmpx_gt_i64_e64 s[8:9], v[14:15]
	s_cbranch_execz .LBB4_6
; %bb.5:                                ;   in Loop: Header=BB4_4 Depth=1
	global_load_b64 v[12:13], v[10:11], off
	s_wait_loadcnt 0x0
	v_cmp_gt_f32_e32 vcc_lo, 0, v13
	s_wait_dscnt 0x0
	v_cndmask_b32_e64 v21, v13, -v13, vcc_lo
	v_cmp_gt_f32_e32 vcc_lo, 0, v12
	v_cndmask_b32_e64 v22, v12, -v12, vcc_lo
	v_add_nc_u64_e32 v[12:13], 1, v[14:15]
	s_delay_alu instid0(VALU_DEP_2)
	v_add_f32_e32 v21, v22, v21
.LBB4_6:                                ;   in Loop: Header=BB4_4 Depth=1
	s_wait_xcnt 0x0
	s_or_b32 exec_lo, exec_lo, s4
	s_and_saveexec_b32 s4, s2
	s_cbranch_execz .LBB4_8
; %bb.7:                                ;   in Loop: Header=BB4_4 Depth=1
	ds_store_b64 v1, v[8:9]
	ds_store_b32 v1, v7 offset:8
.LBB4_8:                                ;   in Loop: Header=BB4_4 Depth=1
	s_or_b32 exec_lo, exec_lo, s4
	ds_bpermute_b32 v14, v5, v12
	ds_bpermute_b32 v15, v5, v13
	s_wait_dscnt 0x2
	ds_bpermute_b32 v23, v5, v21
	v_mov_b32_e32 v22, v21
	s_mov_b32 s5, exec_lo
	s_wait_dscnt 0x0
	s_barrier_signal -1
	s_barrier_wait -1
	v_cmpx_ne_u64_e32 0, v[14:15]
	s_cbranch_execz .LBB4_12
; %bb.9:                                ;   in Loop: Header=BB4_4 Depth=1
	v_cmp_ne_u64_e32 vcc_lo, 0, v[12:13]
	v_cmp_nlt_f32_e64 s4, v21, v23
	s_and_b32 s15, vcc_lo, s4
	s_delay_alu instid0(SALU_CYCLE_1)
	s_and_saveexec_b32 s4, s15
	s_cbranch_execz .LBB4_11
; %bb.10:                               ;   in Loop: Header=BB4_4 Depth=1
	v_min_i64 v[14:15], v[14:15], v[12:13]
	v_cmp_eq_f32_e32 vcc_lo, v21, v23
	v_mov_b32_e32 v23, v21
	s_delay_alu instid0(VALU_DEP_3)
	v_dual_cndmask_b32 v15, v13, v15 :: v_dual_cndmask_b32 v14, v12, v14
.LBB4_11:                               ;   in Loop: Header=BB4_4 Depth=1
	s_or_b32 exec_lo, exec_lo, s4
	s_delay_alu instid0(VALU_DEP_1) | instskip(NEXT) | instid1(VALU_DEP_3)
	v_mov_b64_e32 v[12:13], v[14:15]
	v_dual_mov_b32 v21, v23 :: v_dual_mov_b32 v22, v23
.LBB4_12:                               ;   in Loop: Header=BB4_4 Depth=1
	s_or_b32 exec_lo, exec_lo, s5
	ds_bpermute_b32 v14, v16, v12
	ds_bpermute_b32 v15, v16, v13
	;; [unrolled: 1-line block ×3, first 2 shown]
	s_mov_b32 s5, exec_lo
	s_wait_dscnt 0x1
	v_cmpx_ne_u64_e32 0, v[14:15]
	s_cbranch_execz .LBB4_16
; %bb.13:                               ;   in Loop: Header=BB4_4 Depth=1
	v_cmp_ne_u64_e32 vcc_lo, 0, v[12:13]
	s_wait_dscnt 0x0
	v_cmp_nlt_f32_e64 s4, v22, v23
	v_mov_b32_e32 v24, v23
	s_and_b32 s15, vcc_lo, s4
	s_delay_alu instid0(SALU_CYCLE_1)
	s_and_saveexec_b32 s4, s15
	s_cbranch_execz .LBB4_15
; %bb.14:                               ;   in Loop: Header=BB4_4 Depth=1
	v_min_i64 v[14:15], v[14:15], v[12:13]
	v_cmp_eq_f32_e32 vcc_lo, v22, v23
	v_dual_mov_b32 v24, v22 :: v_dual_mov_b32 v23, v21
	s_delay_alu instid0(VALU_DEP_3)
	v_dual_cndmask_b32 v14, v12, v14 :: v_dual_cndmask_b32 v15, v13, v15
.LBB4_15:                               ;   in Loop: Header=BB4_4 Depth=1
	s_or_b32 exec_lo, exec_lo, s4
	s_delay_alu instid0(VALU_DEP_1) | instskip(NEXT) | instid1(VALU_DEP_2)
	v_mov_b64_e32 v[12:13], v[14:15]
	v_dual_mov_b32 v21, v23 :: v_dual_mov_b32 v22, v24
.LBB4_16:                               ;   in Loop: Header=BB4_4 Depth=1
	s_or_b32 exec_lo, exec_lo, s5
	ds_bpermute_b32 v14, v17, v12
	ds_bpermute_b32 v15, v17, v13
	s_wait_dscnt 0x2
	ds_bpermute_b32 v23, v17, v21
	s_mov_b32 s5, exec_lo
	s_wait_dscnt 0x1
	v_cmpx_ne_u64_e32 0, v[14:15]
	s_cbranch_execz .LBB4_20
; %bb.17:                               ;   in Loop: Header=BB4_4 Depth=1
	v_cmp_ne_u64_e32 vcc_lo, 0, v[12:13]
	s_wait_dscnt 0x0
	v_cmp_nlt_f32_e64 s4, v22, v23
	v_mov_b32_e32 v24, v23
	s_and_b32 s15, vcc_lo, s4
	s_delay_alu instid0(SALU_CYCLE_1)
	s_and_saveexec_b32 s4, s15
	s_cbranch_execz .LBB4_19
; %bb.18:                               ;   in Loop: Header=BB4_4 Depth=1
	v_min_i64 v[14:15], v[14:15], v[12:13]
	v_cmp_eq_f32_e32 vcc_lo, v22, v23
	v_dual_mov_b32 v24, v22 :: v_dual_mov_b32 v23, v21
	s_delay_alu instid0(VALU_DEP_3)
	v_dual_cndmask_b32 v14, v12, v14 :: v_dual_cndmask_b32 v15, v13, v15
.LBB4_19:                               ;   in Loop: Header=BB4_4 Depth=1
	s_or_b32 exec_lo, exec_lo, s4
	s_delay_alu instid0(VALU_DEP_1) | instskip(NEXT) | instid1(VALU_DEP_2)
	v_mov_b64_e32 v[12:13], v[14:15]
	v_dual_mov_b32 v21, v23 :: v_dual_mov_b32 v22, v24
.LBB4_20:                               ;   in Loop: Header=BB4_4 Depth=1
	s_or_b32 exec_lo, exec_lo, s5
	ds_bpermute_b32 v14, v18, v12
	ds_bpermute_b32 v15, v18, v13
	s_wait_dscnt 0x2
	ds_bpermute_b32 v23, v18, v21
	s_mov_b32 s5, exec_lo
	s_wait_dscnt 0x1
	v_cmpx_ne_u64_e32 0, v[14:15]
	s_cbranch_execz .LBB4_24
; %bb.21:                               ;   in Loop: Header=BB4_4 Depth=1
	v_cmp_ne_u64_e32 vcc_lo, 0, v[12:13]
	s_wait_dscnt 0x0
	v_cmp_nlt_f32_e64 s4, v22, v23
	v_mov_b32_e32 v24, v23
	s_and_b32 s15, vcc_lo, s4
	s_delay_alu instid0(SALU_CYCLE_1)
	s_and_saveexec_b32 s4, s15
	s_cbranch_execz .LBB4_23
; %bb.22:                               ;   in Loop: Header=BB4_4 Depth=1
	v_min_i64 v[14:15], v[14:15], v[12:13]
	v_cmp_eq_f32_e32 vcc_lo, v22, v23
	v_dual_mov_b32 v24, v22 :: v_dual_mov_b32 v23, v21
	s_delay_alu instid0(VALU_DEP_3)
	v_dual_cndmask_b32 v14, v12, v14 :: v_dual_cndmask_b32 v15, v13, v15
.LBB4_23:                               ;   in Loop: Header=BB4_4 Depth=1
	s_or_b32 exec_lo, exec_lo, s4
	s_delay_alu instid0(VALU_DEP_1) | instskip(NEXT) | instid1(VALU_DEP_2)
	v_mov_b64_e32 v[12:13], v[14:15]
	v_dual_mov_b32 v21, v23 :: v_dual_mov_b32 v22, v24
.LBB4_24:                               ;   in Loop: Header=BB4_4 Depth=1
	s_or_b32 exec_lo, exec_lo, s5
	ds_bpermute_b32 v14, v19, v12
	ds_bpermute_b32 v15, v19, v13
	;; [unrolled: 1-line block ×3, first 2 shown]
	s_mov_b32 s15, exec_lo
	s_wait_dscnt 0x1
	v_cmpx_ne_u64_e32 0, v[14:15]
	s_cbranch_execz .LBB4_26
; %bb.25:                               ;   in Loop: Header=BB4_4 Depth=1
	v_min_i64 v[24:25], v[14:15], v[12:13]
	s_wait_dscnt 0x0
	v_cmp_eq_f32_e32 vcc_lo, v22, v21
	v_cmp_eq_u64_e64 s4, 0, v[12:13]
	v_cmp_lt_f32_e64 s5, v22, v21
	s_delay_alu instid0(VALU_DEP_4)
	v_dual_cndmask_b32 v12, v12, v24 :: v_dual_cndmask_b32 v13, v13, v25
	s_or_b32 vcc_lo, s4, s5
	s_delay_alu instid0(VALU_DEP_1) | instid1(SALU_CYCLE_1)
	v_dual_cndmask_b32 v22, v22, v21, vcc_lo :: v_dual_cndmask_b32 v12, v12, v14, vcc_lo
	s_delay_alu instid0(VALU_DEP_2)
	v_cndmask_b32_e32 v13, v13, v15, vcc_lo
.LBB4_26:                               ;   in Loop: Header=BB4_4 Depth=1
	s_or_b32 exec_lo, exec_lo, s15
	s_and_saveexec_b32 s4, s3
	s_cbranch_execz .LBB4_28
; %bb.27:                               ;   in Loop: Header=BB4_4 Depth=1
	ds_store_b64 v20, v[12:13]
	ds_store_b32 v20, v22 offset:8
.LBB4_28:                               ;   in Loop: Header=BB4_4 Depth=1
	s_or_b32 exec_lo, exec_lo, s4
	v_mov_b64_e32 v[12:13], 0
	s_wait_dscnt 0x0
	v_mov_b32_e32 v21, 0
	s_barrier_signal -1
	s_barrier_wait -1
	s_and_saveexec_b32 s4, s2
	s_cbranch_execz .LBB4_30
; %bb.29:                               ;   in Loop: Header=BB4_4 Depth=1
	ds_load_b64 v[12:13], v1
	ds_load_b32 v21, v1 offset:8
.LBB4_30:                               ;   in Loop: Header=BB4_4 Depth=1
	s_or_b32 exec_lo, exec_lo, s4
	s_and_saveexec_b32 s15, s2
	s_cbranch_execz .LBB4_50
; %bb.31:                               ;   in Loop: Header=BB4_4 Depth=1
	s_wait_dscnt 0x1
	ds_bpermute_b32 v14, v5, v12
	ds_bpermute_b32 v15, v5, v13
	s_wait_dscnt 0x2
	ds_bpermute_b32 v23, v5, v21
	v_mov_b32_e32 v22, v21
	s_mov_b32 s5, exec_lo
	s_wait_dscnt 0x1
	v_cmpx_ne_u64_e32 0, v[14:15]
	s_cbranch_execz .LBB4_35
; %bb.32:                               ;   in Loop: Header=BB4_4 Depth=1
	v_cmp_ne_u64_e32 vcc_lo, 0, v[12:13]
	s_wait_dscnt 0x0
	v_cmp_nlt_f32_e64 s4, v21, v23
	s_and_b32 s17, vcc_lo, s4
	s_delay_alu instid0(SALU_CYCLE_1)
	s_and_saveexec_b32 s4, s17
	s_cbranch_execz .LBB4_34
; %bb.33:                               ;   in Loop: Header=BB4_4 Depth=1
	v_min_i64 v[14:15], v[14:15], v[12:13]
	v_cmp_eq_f32_e32 vcc_lo, v21, v23
	v_mov_b32_e32 v23, v21
	s_delay_alu instid0(VALU_DEP_3)
	v_dual_cndmask_b32 v15, v13, v15 :: v_dual_cndmask_b32 v14, v12, v14
.LBB4_34:                               ;   in Loop: Header=BB4_4 Depth=1
	s_or_b32 exec_lo, exec_lo, s4
	s_delay_alu instid0(VALU_DEP_1) | instskip(NEXT) | instid1(VALU_DEP_3)
	v_mov_b64_e32 v[12:13], v[14:15]
	v_dual_mov_b32 v21, v23 :: v_dual_mov_b32 v22, v23
.LBB4_35:                               ;   in Loop: Header=BB4_4 Depth=1
	s_or_b32 exec_lo, exec_lo, s5
	ds_bpermute_b32 v14, v16, v12
	ds_bpermute_b32 v15, v16, v13
	s_wait_dscnt 0x2
	ds_bpermute_b32 v23, v16, v21
	s_mov_b32 s5, exec_lo
	s_wait_dscnt 0x1
	v_cmpx_ne_u64_e32 0, v[14:15]
	s_cbranch_execz .LBB4_39
; %bb.36:                               ;   in Loop: Header=BB4_4 Depth=1
	v_cmp_ne_u64_e32 vcc_lo, 0, v[12:13]
	s_wait_dscnt 0x0
	v_cmp_nlt_f32_e64 s4, v22, v23
	v_mov_b32_e32 v24, v23
	s_and_b32 s17, vcc_lo, s4
	s_delay_alu instid0(SALU_CYCLE_1)
	s_and_saveexec_b32 s4, s17
	s_cbranch_execz .LBB4_38
; %bb.37:                               ;   in Loop: Header=BB4_4 Depth=1
	v_min_i64 v[14:15], v[14:15], v[12:13]
	v_cmp_eq_f32_e32 vcc_lo, v22, v23
	v_dual_mov_b32 v24, v22 :: v_dual_mov_b32 v23, v21
	s_delay_alu instid0(VALU_DEP_3)
	v_dual_cndmask_b32 v14, v12, v14 :: v_dual_cndmask_b32 v15, v13, v15
.LBB4_38:                               ;   in Loop: Header=BB4_4 Depth=1
	s_or_b32 exec_lo, exec_lo, s4
	s_delay_alu instid0(VALU_DEP_1) | instskip(NEXT) | instid1(VALU_DEP_2)
	v_mov_b64_e32 v[12:13], v[14:15]
	v_dual_mov_b32 v21, v23 :: v_dual_mov_b32 v22, v24
.LBB4_39:                               ;   in Loop: Header=BB4_4 Depth=1
	s_or_b32 exec_lo, exec_lo, s5
	ds_bpermute_b32 v14, v17, v12
	ds_bpermute_b32 v15, v17, v13
	s_wait_dscnt 0x2
	ds_bpermute_b32 v23, v17, v21
	s_mov_b32 s5, exec_lo
	s_wait_dscnt 0x1
	v_cmpx_ne_u64_e32 0, v[14:15]
	s_cbranch_execz .LBB4_43
; %bb.40:                               ;   in Loop: Header=BB4_4 Depth=1
	v_cmp_ne_u64_e32 vcc_lo, 0, v[12:13]
	s_wait_dscnt 0x0
	v_cmp_nlt_f32_e64 s4, v22, v23
	v_mov_b32_e32 v24, v23
	s_and_b32 s17, vcc_lo, s4
	s_delay_alu instid0(SALU_CYCLE_1)
	s_and_saveexec_b32 s4, s17
	s_cbranch_execz .LBB4_42
; %bb.41:                               ;   in Loop: Header=BB4_4 Depth=1
	v_min_i64 v[14:15], v[14:15], v[12:13]
	v_cmp_eq_f32_e32 vcc_lo, v22, v23
	v_dual_mov_b32 v24, v22 :: v_dual_mov_b32 v23, v21
	s_delay_alu instid0(VALU_DEP_3)
	v_dual_cndmask_b32 v14, v12, v14 :: v_dual_cndmask_b32 v15, v13, v15
.LBB4_42:                               ;   in Loop: Header=BB4_4 Depth=1
	s_or_b32 exec_lo, exec_lo, s4
	s_delay_alu instid0(VALU_DEP_1) | instskip(NEXT) | instid1(VALU_DEP_2)
	v_mov_b64_e32 v[12:13], v[14:15]
	v_dual_mov_b32 v21, v23 :: v_dual_mov_b32 v22, v24
.LBB4_43:                               ;   in Loop: Header=BB4_4 Depth=1
	;; [unrolled: 30-line block ×3, first 2 shown]
	s_or_b32 exec_lo, exec_lo, s5
	ds_bpermute_b32 v14, v19, v12
	ds_bpermute_b32 v15, v19, v13
	ds_bpermute_b32 v21, v19, v21
	s_mov_b32 s17, exec_lo
	s_wait_dscnt 0x1
	v_cmpx_ne_u64_e32 0, v[14:15]
	s_cbranch_execz .LBB4_49
; %bb.48:                               ;   in Loop: Header=BB4_4 Depth=1
	v_min_i64 v[24:25], v[14:15], v[12:13]
	s_wait_dscnt 0x0
	v_cmp_eq_f32_e32 vcc_lo, v22, v21
	v_cmp_eq_u64_e64 s4, 0, v[12:13]
	v_cmp_lt_f32_e64 s5, v22, v21
	s_delay_alu instid0(VALU_DEP_4)
	v_dual_cndmask_b32 v12, v12, v24 :: v_dual_cndmask_b32 v13, v13, v25
	s_or_b32 vcc_lo, s4, s5
	s_delay_alu instid0(VALU_DEP_1) | instid1(SALU_CYCLE_1)
	v_dual_cndmask_b32 v22, v22, v21, vcc_lo :: v_dual_cndmask_b32 v12, v12, v14, vcc_lo
	s_delay_alu instid0(VALU_DEP_2)
	v_cndmask_b32_e32 v13, v13, v15, vcc_lo
.LBB4_49:                               ;   in Loop: Header=BB4_4 Depth=1
	s_or_b32 exec_lo, exec_lo, s17
	s_wait_dscnt 0x0
	s_delay_alu instid0(VALU_DEP_2)
	v_mov_b32_e32 v21, v22
.LBB4_50:                               ;   in Loop: Header=BB4_4 Depth=1
	s_or_b32 exec_lo, exec_lo, s15
	s_wait_dscnt 0x1
	v_cmp_ne_u64_e32 vcc_lo, 0, v[12:13]
	s_and_b32 s4, s14, vcc_lo
	s_delay_alu instid0(SALU_CYCLE_1)
	s_and_saveexec_b32 s5, s4
	s_cbranch_execz .LBB4_3
; %bb.51:                               ;   in Loop: Header=BB4_4 Depth=1
	v_cmp_ne_u64_e32 vcc_lo, 0, v[2:3]
	s_wait_dscnt 0x0
	v_cmp_ngt_f32_e64 s4, v21, v4
	v_mov_b32_e32 v14, v21
	s_and_b32 s15, vcc_lo, s4
	s_delay_alu instid0(SALU_CYCLE_1)
	s_and_saveexec_b32 s4, s15
	s_cbranch_execz .LBB4_2
; %bb.52:                               ;   in Loop: Header=BB4_4 Depth=1
	v_min_i64 v[12:13], v[12:13], v[2:3]
	v_cmp_eq_f32_e32 vcc_lo, v4, v21
	s_delay_alu instid0(VALU_DEP_2) | instskip(NEXT) | instid1(VALU_DEP_3)
	v_dual_mov_b32 v14, v4 :: v_dual_cndmask_b32 v13, v3, v13
	v_cndmask_b32_e32 v12, v2, v12, vcc_lo
	s_branch .LBB4_2
.LBB4_53:
	v_mov_b64_e32 v[2:3], 0
.LBB4_54:
	s_mov_b32 s3, 0
	s_mov_b32 s2, exec_lo
	v_cmpx_eq_u32_e32 0, v0
	s_cbranch_execz .LBB4_56
; %bb.55:
	s_load_b32 s2, s[0:1], 0x30
	s_mov_b32 s17, s3
	v_mov_b32_e32 v0, 0
	s_wait_kmcnt 0x0
	s_mul_u64 s[0:1], s[2:3], s[18:19]
	s_lshl_b64 s[2:3], s[16:17], 4
	s_lshl_b64 s[0:1], s[0:1], 4
	s_delay_alu instid0(SALU_CYCLE_1) | instskip(NEXT) | instid1(SALU_CYCLE_1)
	s_add_nc_u64 s[0:1], s[6:7], s[0:1]
	s_add_nc_u64 s[0:1], s[0:1], s[2:3]
	global_store_b96 v0, v[2:4], s[0:1]
.LBB4_56:
	s_endpgm
	.section	.rodata,"a",@progbits
	.p2align	6, 0x0
	.amdhsa_kernel _ZL35rocblas_iamax_iamin_kernel_part1_64ILi1024E26rocblas_fetch_amax_amin_64IfE22rocblas_reduce_amax_64PK19rocblas_complex_numIfE24rocblas_index_64_value_tIfEEvlT2_lllPT3_
		.amdhsa_group_segment_fixed_size 512
		.amdhsa_private_segment_fixed_size 0
		.amdhsa_kernarg_size 304
		.amdhsa_user_sgpr_count 2
		.amdhsa_user_sgpr_dispatch_ptr 0
		.amdhsa_user_sgpr_queue_ptr 0
		.amdhsa_user_sgpr_kernarg_segment_ptr 1
		.amdhsa_user_sgpr_dispatch_id 0
		.amdhsa_user_sgpr_kernarg_preload_length 0
		.amdhsa_user_sgpr_kernarg_preload_offset 0
		.amdhsa_user_sgpr_private_segment_size 0
		.amdhsa_wavefront_size32 1
		.amdhsa_uses_dynamic_stack 0
		.amdhsa_enable_private_segment 0
		.amdhsa_system_sgpr_workgroup_id_x 1
		.amdhsa_system_sgpr_workgroup_id_y 0
		.amdhsa_system_sgpr_workgroup_id_z 1
		.amdhsa_system_sgpr_workgroup_info 0
		.amdhsa_system_vgpr_workitem_id 0
		.amdhsa_next_free_vgpr 26
		.amdhsa_next_free_sgpr 22
		.amdhsa_named_barrier_count 0
		.amdhsa_reserve_vcc 1
		.amdhsa_float_round_mode_32 0
		.amdhsa_float_round_mode_16_64 0
		.amdhsa_float_denorm_mode_32 3
		.amdhsa_float_denorm_mode_16_64 3
		.amdhsa_fp16_overflow 0
		.amdhsa_memory_ordered 1
		.amdhsa_forward_progress 1
		.amdhsa_inst_pref_size 17
		.amdhsa_round_robin_scheduling 0
		.amdhsa_exception_fp_ieee_invalid_op 0
		.amdhsa_exception_fp_denorm_src 0
		.amdhsa_exception_fp_ieee_div_zero 0
		.amdhsa_exception_fp_ieee_overflow 0
		.amdhsa_exception_fp_ieee_underflow 0
		.amdhsa_exception_fp_ieee_inexact 0
		.amdhsa_exception_int_div_zero 0
	.end_amdhsa_kernel
	.section	.text._ZL35rocblas_iamax_iamin_kernel_part1_64ILi1024E26rocblas_fetch_amax_amin_64IfE22rocblas_reduce_amax_64PK19rocblas_complex_numIfE24rocblas_index_64_value_tIfEEvlT2_lllPT3_,"axG",@progbits,_ZL35rocblas_iamax_iamin_kernel_part1_64ILi1024E26rocblas_fetch_amax_amin_64IfE22rocblas_reduce_amax_64PK19rocblas_complex_numIfE24rocblas_index_64_value_tIfEEvlT2_lllPT3_,comdat
.Lfunc_end4:
	.size	_ZL35rocblas_iamax_iamin_kernel_part1_64ILi1024E26rocblas_fetch_amax_amin_64IfE22rocblas_reduce_amax_64PK19rocblas_complex_numIfE24rocblas_index_64_value_tIfEEvlT2_lllPT3_, .Lfunc_end4-_ZL35rocblas_iamax_iamin_kernel_part1_64ILi1024E26rocblas_fetch_amax_amin_64IfE22rocblas_reduce_amax_64PK19rocblas_complex_numIfE24rocblas_index_64_value_tIfEEvlT2_lllPT3_
                                        ; -- End function
	.set _ZL35rocblas_iamax_iamin_kernel_part1_64ILi1024E26rocblas_fetch_amax_amin_64IfE22rocblas_reduce_amax_64PK19rocblas_complex_numIfE24rocblas_index_64_value_tIfEEvlT2_lllPT3_.num_vgpr, 26
	.set _ZL35rocblas_iamax_iamin_kernel_part1_64ILi1024E26rocblas_fetch_amax_amin_64IfE22rocblas_reduce_amax_64PK19rocblas_complex_numIfE24rocblas_index_64_value_tIfEEvlT2_lllPT3_.num_agpr, 0
	.set _ZL35rocblas_iamax_iamin_kernel_part1_64ILi1024E26rocblas_fetch_amax_amin_64IfE22rocblas_reduce_amax_64PK19rocblas_complex_numIfE24rocblas_index_64_value_tIfEEvlT2_lllPT3_.numbered_sgpr, 22
	.set _ZL35rocblas_iamax_iamin_kernel_part1_64ILi1024E26rocblas_fetch_amax_amin_64IfE22rocblas_reduce_amax_64PK19rocblas_complex_numIfE24rocblas_index_64_value_tIfEEvlT2_lllPT3_.num_named_barrier, 0
	.set _ZL35rocblas_iamax_iamin_kernel_part1_64ILi1024E26rocblas_fetch_amax_amin_64IfE22rocblas_reduce_amax_64PK19rocblas_complex_numIfE24rocblas_index_64_value_tIfEEvlT2_lllPT3_.private_seg_size, 0
	.set _ZL35rocblas_iamax_iamin_kernel_part1_64ILi1024E26rocblas_fetch_amax_amin_64IfE22rocblas_reduce_amax_64PK19rocblas_complex_numIfE24rocblas_index_64_value_tIfEEvlT2_lllPT3_.uses_vcc, 1
	.set _ZL35rocblas_iamax_iamin_kernel_part1_64ILi1024E26rocblas_fetch_amax_amin_64IfE22rocblas_reduce_amax_64PK19rocblas_complex_numIfE24rocblas_index_64_value_tIfEEvlT2_lllPT3_.uses_flat_scratch, 0
	.set _ZL35rocblas_iamax_iamin_kernel_part1_64ILi1024E26rocblas_fetch_amax_amin_64IfE22rocblas_reduce_amax_64PK19rocblas_complex_numIfE24rocblas_index_64_value_tIfEEvlT2_lllPT3_.has_dyn_sized_stack, 0
	.set _ZL35rocblas_iamax_iamin_kernel_part1_64ILi1024E26rocblas_fetch_amax_amin_64IfE22rocblas_reduce_amax_64PK19rocblas_complex_numIfE24rocblas_index_64_value_tIfEEvlT2_lllPT3_.has_recursion, 0
	.set _ZL35rocblas_iamax_iamin_kernel_part1_64ILi1024E26rocblas_fetch_amax_amin_64IfE22rocblas_reduce_amax_64PK19rocblas_complex_numIfE24rocblas_index_64_value_tIfEEvlT2_lllPT3_.has_indirect_call, 0
	.section	.AMDGPU.csdata,"",@progbits
; Kernel info:
; codeLenInByte = 2104
; TotalNumSgprs: 24
; NumVgprs: 26
; ScratchSize: 0
; MemoryBound: 0
; FloatMode: 240
; IeeeMode: 1
; LDSByteSize: 512 bytes/workgroup (compile time only)
; SGPRBlocks: 0
; VGPRBlocks: 1
; NumSGPRsForWavesPerEU: 24
; NumVGPRsForWavesPerEU: 26
; NamedBarCnt: 0
; Occupancy: 16
; WaveLimiterHint : 0
; COMPUTE_PGM_RSRC2:SCRATCH_EN: 0
; COMPUTE_PGM_RSRC2:USER_SGPR: 2
; COMPUTE_PGM_RSRC2:TRAP_HANDLER: 0
; COMPUTE_PGM_RSRC2:TGID_X_EN: 1
; COMPUTE_PGM_RSRC2:TGID_Y_EN: 0
; COMPUTE_PGM_RSRC2:TGID_Z_EN: 1
; COMPUTE_PGM_RSRC2:TIDIG_COMP_CNT: 0
	.section	.text._ZL35rocblas_iamax_iamin_kernel_part1_64ILi1024E26rocblas_fetch_amax_amin_64IdE22rocblas_reduce_amax_64PK19rocblas_complex_numIdE24rocblas_index_64_value_tIdEEvlT2_lllPT3_,"axG",@progbits,_ZL35rocblas_iamax_iamin_kernel_part1_64ILi1024E26rocblas_fetch_amax_amin_64IdE22rocblas_reduce_amax_64PK19rocblas_complex_numIdE24rocblas_index_64_value_tIdEEvlT2_lllPT3_,comdat
	.globl	_ZL35rocblas_iamax_iamin_kernel_part1_64ILi1024E26rocblas_fetch_amax_amin_64IdE22rocblas_reduce_amax_64PK19rocblas_complex_numIdE24rocblas_index_64_value_tIdEEvlT2_lllPT3_ ; -- Begin function _ZL35rocblas_iamax_iamin_kernel_part1_64ILi1024E26rocblas_fetch_amax_amin_64IdE22rocblas_reduce_amax_64PK19rocblas_complex_numIdE24rocblas_index_64_value_tIdEEvlT2_lllPT3_
	.p2align	8
	.type	_ZL35rocblas_iamax_iamin_kernel_part1_64ILi1024E26rocblas_fetch_amax_amin_64IdE22rocblas_reduce_amax_64PK19rocblas_complex_numIdE24rocblas_index_64_value_tIdEEvlT2_lllPT3_,@function
_ZL35rocblas_iamax_iamin_kernel_part1_64ILi1024E26rocblas_fetch_amax_amin_64IdE22rocblas_reduce_amax_64PK19rocblas_complex_numIdE24rocblas_index_64_value_tIdEEvlT2_lllPT3_: ; @_ZL35rocblas_iamax_iamin_kernel_part1_64ILi1024E26rocblas_fetch_amax_amin_64IdE22rocblas_reduce_amax_64PK19rocblas_complex_numIdE24rocblas_index_64_value_tIdEEvlT2_lllPT3_
; %bb.0:
	s_clause 0x1
	s_load_b256 s[8:15], s[0:1], 0x0
	s_load_b128 s[4:7], s[0:1], 0x20
	s_bfe_u32 s2, ttmp6, 0x40014
	s_lshr_b32 s3, ttmp7, 16
	s_add_co_i32 s2, s2, 1
	s_bfe_u32 s17, ttmp6, 0x4000c
	s_mul_i32 s2, s3, s2
	s_bfe_u32 s16, ttmp6, 0x40008
	s_add_co_i32 s17, s17, 1
	s_add_co_i32 s16, s16, s2
	s_and_b32 s2, ttmp6, 15
	s_mul_i32 s17, ttmp9, s17
	s_getreg_b32 s18, hwreg(HW_REG_IB_STS2, 6, 4)
	s_add_co_i32 s2, s2, s17
	s_cmp_eq_u32 s18, 0
	s_mov_b32 s17, 0
	s_cselect_b32 s18, ttmp9, s2
	s_cselect_b32 s16, s3, s16
	s_wait_kmcnt 0x0
	v_cmp_lt_i64_e64 s19, s[8:9], 1
	s_and_b32 vcc_lo, exec_lo, s19
	s_cbranch_vccnz .LBB5_53
; %bb.1:
	v_dual_mov_b32 v2, 0 :: v_dual_bitop2_b32 v3, 31, v0 bitop3:0x40
	v_lshl_or_b32 v18, s18, 10, v0
	v_mbcnt_lo_u32_b32 v6, -1, 0
	s_load_b32 s19, s[0:1], 0x30
	s_delay_alu instid0(VALU_DEP_3) | instskip(SKIP_1) | instid1(VALU_DEP_2)
	v_dual_mov_b32 v19, v2 :: v_dual_lshrrev_b32 v8, 1, v0
	s_mul_u64 s[4:5], s[4:5], s[16:17]
	v_cmp_gt_u32_e64 s3, 24, v6
	s_lshl_b64 s[12:13], s[12:13], 4
	v_mul_u64_e32 v[4:5], s[14:15], v[18:19]
	s_lshl_b64 s[4:5], s[4:5], 4
	s_add_nc_u64 s[12:13], s[10:11], s[12:13]
	v_cndmask_b32_e64 v7, 0, 8, s3
	v_cmp_gt_u32_e64 s3, 28, v6
	s_add_nc_u64 s[4:5], s[12:13], s[4:5]
	v_cmp_ne_u32_e32 vcc_lo, 0, v0
	v_lshl_or_b32 v24, v6, 2, 64
	v_add_lshl_u32 v25, v7, v6, 2
	v_cndmask_b32_e64 v9, 0, 4, s3
	v_cmp_gt_u32_e64 s3, 30, v6
	s_mov_b32 s11, s17
	v_cmp_gt_u32_e64 s2, 32, v0
	v_lshlrev_b32_e32 v1, 4, v3
	v_add_lshl_u32 v26, v9, v6, 2
	v_cndmask_b32_e64 v10, 0, 2, s3
	v_cmp_ne_u32_e64 s3, 31, v6
	s_wait_kmcnt 0x0
	s_lshl_b32 s10, s19, 10
	v_and_b32_e32 v29, 0x1f0, v8
	s_xor_b32 s19, vcc_lo, -1
	v_add_lshl_u32 v27, v10, v6, 2
	v_add_co_ci_u32_e64 v11, null, 0, v6, s3
	v_mov_b64_e32 v[6:7], 0
	v_cmp_eq_u32_e64 s3, 0, v3
                                        ; implicit-def: $vgpr12_vgpr13
	s_delay_alu instid0(VALU_DEP_3) | instskip(SKIP_4) | instid1(VALU_DEP_1)
	v_lshlrev_b32_e32 v28, 2, v11
	v_lshl_add_u64 v[4:5], v[4:5], 4, s[4:5]
	s_mul_u64 s[4:5], s[14:15], s[10:11]
	s_mov_b64 s[14:15], 0
	s_lshl_b64 s[12:13], s[4:5], 4
	v_add_nc_u64_e32 v[20:21], 8, v[4:5]
	s_branch .LBB5_4
.LBB5_2:                                ;   in Loop: Header=BB5_4 Depth=1
	s_or_b32 exec_lo, exec_lo, s4
	s_delay_alu instid0(VALU_DEP_2) | instskip(NEXT) | instid1(VALU_DEP_2)
	v_mov_b64_e32 v[6:7], v[10:11]
	v_mov_b64_e32 v[8:9], v[4:5]
.LBB5_3:                                ;   in Loop: Header=BB5_4 Depth=1
	s_or_b32 exec_lo, exec_lo, s5
	s_add_nc_u64 s[14:15], s[14:15], s[10:11]
	v_add_nc_u64_e32 v[20:21], s[12:13], v[20:21]
	v_cmp_ge_i64_e64 s4, s[14:15], s[8:9]
	s_and_b32 vcc_lo, exec_lo, s4
	s_cbranch_vccnz .LBB5_54
.LBB5_4:                                ; =>This Inner Loop Header: Depth=1
	v_add_nc_u64_e32 v[4:5], s[14:15], v[18:19]
	v_mov_b64_e32 v[14:15], 0
	s_mov_b32 s4, exec_lo
	s_delay_alu instid0(VALU_DEP_2)
	v_cmpx_gt_i64_e64 s[8:9], v[4:5]
	s_cbranch_execz .LBB5_6
; %bb.5:                                ;   in Loop: Header=BB5_4 Depth=1
	global_load_b128 v[10:13], v[20:21], off offset:-8
	s_wait_loadcnt 0x0
	v_cmp_gt_f64_e32 vcc_lo, 0, v[10:11]
	v_xor_b32_e32 v3, 0x80000000, v11
	v_xor_b32_e32 v14, 0x80000000, v13
	s_delay_alu instid0(VALU_DEP_2) | instskip(SKIP_1) | instid1(VALU_DEP_3)
	v_cndmask_b32_e32 v11, v11, v3, vcc_lo
	v_cmp_gt_f64_e32 vcc_lo, 0, v[12:13]
	v_cndmask_b32_e32 v13, v13, v14, vcc_lo
	v_add_nc_u64_e32 v[14:15], 1, v[4:5]
	s_delay_alu instid0(VALU_DEP_2)
	v_add_f64_e32 v[12:13], v[10:11], v[12:13]
.LBB5_6:                                ;   in Loop: Header=BB5_4 Depth=1
	s_or_b32 exec_lo, exec_lo, s4
	s_and_saveexec_b32 s4, s2
; %bb.7:                                ;   in Loop: Header=BB5_4 Depth=1
	v_dual_mov_b32 v3, v2 :: v_dual_mov_b32 v4, v2
	v_mov_b32_e32 v5, v2
	ds_store_b128 v1, v[2:5]
; %bb.8:                                ;   in Loop: Header=BB5_4 Depth=1
	s_or_b32 exec_lo, exec_lo, s4
	ds_bpermute_b32 v4, v24, v14
	ds_bpermute_b32 v5, v24, v15
	;; [unrolled: 1-line block ×4, first 2 shown]
	v_mov_b64_e32 v[16:17], v[12:13]
	s_mov_b32 s5, exec_lo
	s_wait_dscnt 0x0
	s_barrier_signal -1
	s_barrier_wait -1
	v_cmpx_ne_u64_e32 0, v[4:5]
	s_cbranch_execz .LBB5_12
; %bb.9:                                ;   in Loop: Header=BB5_4 Depth=1
	v_cmp_nlt_f64_e32 vcc_lo, v[12:13], v[10:11]
	v_cmp_ne_u64_e64 s4, 0, v[14:15]
	v_mov_b64_e32 v[16:17], v[10:11]
	s_and_b32 s20, s4, vcc_lo
	s_delay_alu instid0(SALU_CYCLE_1)
	s_and_saveexec_b32 s4, s20
	s_cbranch_execz .LBB5_11
; %bb.10:                               ;   in Loop: Header=BB5_4 Depth=1
	v_min_i64 v[4:5], v[4:5], v[14:15]
	v_cmp_eq_f64_e32 vcc_lo, v[12:13], v[10:11]
	v_mov_b64_e32 v[16:17], v[12:13]
	v_dual_mov_b32 v10, v12 :: v_dual_mov_b32 v11, v13
	s_delay_alu instid0(VALU_DEP_4)
	v_dual_cndmask_b32 v4, v14, v4 :: v_dual_cndmask_b32 v5, v15, v5
.LBB5_11:                               ;   in Loop: Header=BB5_4 Depth=1
	s_or_b32 exec_lo, exec_lo, s4
	s_delay_alu instid0(VALU_DEP_1) | instskip(NEXT) | instid1(VALU_DEP_3)
	v_mov_b64_e32 v[14:15], v[4:5]
	v_dual_mov_b32 v13, v11 :: v_dual_mov_b32 v12, v10
.LBB5_12:                               ;   in Loop: Header=BB5_4 Depth=1
	s_or_b32 exec_lo, exec_lo, s5
	ds_bpermute_b32 v4, v25, v14
	ds_bpermute_b32 v5, v25, v15
	;; [unrolled: 1-line block ×4, first 2 shown]
	s_mov_b32 s5, exec_lo
	s_wait_dscnt 0x2
	v_cmpx_ne_u64_e32 0, v[4:5]
	s_cbranch_execz .LBB5_16
; %bb.13:                               ;   in Loop: Header=BB5_4 Depth=1
	s_wait_dscnt 0x0
	v_cmp_nlt_f64_e32 vcc_lo, v[16:17], v[10:11]
	v_cmp_ne_u64_e64 s4, 0, v[14:15]
	v_mov_b64_e32 v[22:23], v[10:11]
	s_and_b32 s20, s4, vcc_lo
	s_delay_alu instid0(SALU_CYCLE_1)
	s_and_saveexec_b32 s4, s20
	s_cbranch_execz .LBB5_15
; %bb.14:                               ;   in Loop: Header=BB5_4 Depth=1
	v_min_i64 v[4:5], v[4:5], v[14:15]
	v_cmp_eq_f64_e32 vcc_lo, v[16:17], v[10:11]
	v_mov_b64_e32 v[22:23], v[16:17]
	v_dual_mov_b32 v10, v12 :: v_dual_mov_b32 v11, v13
	s_delay_alu instid0(VALU_DEP_4)
	v_dual_cndmask_b32 v4, v14, v4 :: v_dual_cndmask_b32 v5, v15, v5
.LBB5_15:                               ;   in Loop: Header=BB5_4 Depth=1
	s_or_b32 exec_lo, exec_lo, s4
	s_delay_alu instid0(VALU_DEP_1) | instskip(NEXT) | instid1(VALU_DEP_2)
	v_mov_b64_e32 v[14:15], v[4:5]
	v_mov_b64_e32 v[16:17], v[22:23]
	v_dual_mov_b32 v13, v11 :: v_dual_mov_b32 v12, v10
.LBB5_16:                               ;   in Loop: Header=BB5_4 Depth=1
	s_or_b32 exec_lo, exec_lo, s5
	ds_bpermute_b32 v4, v26, v14
	ds_bpermute_b32 v5, v26, v15
	s_wait_dscnt 0x3
	ds_bpermute_b32 v10, v26, v12
	s_wait_dscnt 0x3
	ds_bpermute_b32 v11, v26, v13
	s_mov_b32 s5, exec_lo
	s_wait_dscnt 0x2
	v_cmpx_ne_u64_e32 0, v[4:5]
	s_cbranch_execz .LBB5_20
; %bb.17:                               ;   in Loop: Header=BB5_4 Depth=1
	s_wait_dscnt 0x0
	v_cmp_nlt_f64_e32 vcc_lo, v[16:17], v[10:11]
	v_cmp_ne_u64_e64 s4, 0, v[14:15]
	v_mov_b64_e32 v[22:23], v[10:11]
	s_and_b32 s20, s4, vcc_lo
	s_delay_alu instid0(SALU_CYCLE_1)
	s_and_saveexec_b32 s4, s20
	s_cbranch_execz .LBB5_19
; %bb.18:                               ;   in Loop: Header=BB5_4 Depth=1
	v_min_i64 v[4:5], v[4:5], v[14:15]
	v_cmp_eq_f64_e32 vcc_lo, v[16:17], v[10:11]
	v_mov_b64_e32 v[22:23], v[16:17]
	v_dual_mov_b32 v10, v12 :: v_dual_mov_b32 v11, v13
	s_delay_alu instid0(VALU_DEP_4)
	v_dual_cndmask_b32 v4, v14, v4 :: v_dual_cndmask_b32 v5, v15, v5
.LBB5_19:                               ;   in Loop: Header=BB5_4 Depth=1
	s_or_b32 exec_lo, exec_lo, s4
	s_delay_alu instid0(VALU_DEP_1) | instskip(NEXT) | instid1(VALU_DEP_2)
	v_mov_b64_e32 v[14:15], v[4:5]
	v_mov_b64_e32 v[16:17], v[22:23]
	v_dual_mov_b32 v13, v11 :: v_dual_mov_b32 v12, v10
.LBB5_20:                               ;   in Loop: Header=BB5_4 Depth=1
	s_or_b32 exec_lo, exec_lo, s5
	ds_bpermute_b32 v4, v27, v14
	ds_bpermute_b32 v5, v27, v15
	s_wait_dscnt 0x3
	ds_bpermute_b32 v10, v27, v12
	s_wait_dscnt 0x3
	ds_bpermute_b32 v11, v27, v13
	s_mov_b32 s5, exec_lo
	s_wait_dscnt 0x2
	v_cmpx_ne_u64_e32 0, v[4:5]
	s_cbranch_execz .LBB5_24
; %bb.21:                               ;   in Loop: Header=BB5_4 Depth=1
	s_wait_dscnt 0x0
	v_cmp_nlt_f64_e32 vcc_lo, v[16:17], v[10:11]
	v_cmp_ne_u64_e64 s4, 0, v[14:15]
	v_mov_b64_e32 v[22:23], v[10:11]
	s_and_b32 s20, s4, vcc_lo
	s_delay_alu instid0(SALU_CYCLE_1)
	s_and_saveexec_b32 s4, s20
	s_cbranch_execz .LBB5_23
; %bb.22:                               ;   in Loop: Header=BB5_4 Depth=1
	v_min_i64 v[4:5], v[4:5], v[14:15]
	v_cmp_eq_f64_e32 vcc_lo, v[16:17], v[10:11]
	v_mov_b64_e32 v[22:23], v[16:17]
	v_dual_mov_b32 v10, v12 :: v_dual_mov_b32 v11, v13
	s_delay_alu instid0(VALU_DEP_4)
	v_dual_cndmask_b32 v4, v14, v4 :: v_dual_cndmask_b32 v5, v15, v5
.LBB5_23:                               ;   in Loop: Header=BB5_4 Depth=1
	s_or_b32 exec_lo, exec_lo, s4
	s_delay_alu instid0(VALU_DEP_1) | instskip(NEXT) | instid1(VALU_DEP_2)
	v_mov_b64_e32 v[14:15], v[4:5]
	v_mov_b64_e32 v[16:17], v[22:23]
	v_dual_mov_b32 v13, v11 :: v_dual_mov_b32 v12, v10
.LBB5_24:                               ;   in Loop: Header=BB5_4 Depth=1
	s_or_b32 exec_lo, exec_lo, s5
	s_wait_dscnt 0x1
	ds_bpermute_b32 v10, v28, v14
	s_wait_dscnt 0x1
	ds_bpermute_b32 v11, v28, v15
	ds_bpermute_b32 v4, v28, v12
	;; [unrolled: 1-line block ×3, first 2 shown]
	s_mov_b32 s20, exec_lo
	s_wait_dscnt 0x2
	v_cmpx_ne_u64_e32 0, v[10:11]
	s_cbranch_execz .LBB5_26
; %bb.25:                               ;   in Loop: Header=BB5_4 Depth=1
	v_min_i64 v[22:23], v[10:11], v[14:15]
	s_wait_dscnt 0x0
	v_mov_b32_e32 v5, v12
	v_cmp_eq_u64_e64 s5, 0, v[14:15]
	s_delay_alu instid0(VALU_DEP_2) | instskip(NEXT) | instid1(VALU_DEP_4)
	v_cmp_eq_f64_e32 vcc_lo, v[16:17], v[4:5]
	v_cndmask_b32_e32 v3, v14, v22, vcc_lo
	v_cmp_lt_f64_e64 s4, v[16:17], v[4:5]
	v_cndmask_b32_e32 v5, v15, v23, vcc_lo
	s_or_b32 vcc_lo, s5, s4
	v_dual_cndmask_b32 v14, v3, v10 :: v_dual_cndmask_b32 v17, v17, v12
	s_delay_alu instid0(VALU_DEP_2)
	v_dual_cndmask_b32 v15, v5, v11 :: v_dual_cndmask_b32 v16, v16, v4
.LBB5_26:                               ;   in Loop: Header=BB5_4 Depth=1
	s_or_b32 exec_lo, exec_lo, s20
	s_and_saveexec_b32 s4, s3
; %bb.27:                               ;   in Loop: Header=BB5_4 Depth=1
	ds_store_b128 v29, v[14:17]
; %bb.28:                               ;   in Loop: Header=BB5_4 Depth=1
	s_or_b32 exec_lo, exec_lo, s4
	s_wait_dscnt 0x0
	v_mov_b64_e32 v[12:13], 0
	v_mov_b64_e32 v[10:11], 0
	s_barrier_signal -1
	s_barrier_wait -1
	s_and_saveexec_b32 s4, s2
; %bb.29:                               ;   in Loop: Header=BB5_4 Depth=1
	ds_load_b128 v[10:13], v1
; %bb.30:                               ;   in Loop: Header=BB5_4 Depth=1
	s_or_b32 exec_lo, exec_lo, s4
	s_and_saveexec_b32 s20, s2
	s_cbranch_execz .LBB5_50
; %bb.31:                               ;   in Loop: Header=BB5_4 Depth=1
	s_wait_dscnt 0x0
	ds_bpermute_b32 v14, v24, v10
	ds_bpermute_b32 v15, v24, v11
	;; [unrolled: 1-line block ×4, first 2 shown]
	v_mov_b64_e32 v[4:5], v[12:13]
	s_mov_b32 s5, exec_lo
	s_wait_dscnt 0x2
	v_cmpx_ne_u64_e32 0, v[14:15]
	s_cbranch_execz .LBB5_35
; %bb.32:                               ;   in Loop: Header=BB5_4 Depth=1
	s_wait_dscnt 0x0
	v_cmp_nlt_f64_e32 vcc_lo, v[12:13], v[16:17]
	v_cmp_ne_u64_e64 s4, 0, v[10:11]
	v_mov_b64_e32 v[4:5], v[16:17]
	s_and_b32 s21, s4, vcc_lo
	s_delay_alu instid0(SALU_CYCLE_1)
	s_and_saveexec_b32 s4, s21
	s_cbranch_execz .LBB5_34
; %bb.33:                               ;   in Loop: Header=BB5_4 Depth=1
	v_min_i64 v[14:15], v[14:15], v[10:11]
	v_cmp_eq_f64_e32 vcc_lo, v[12:13], v[16:17]
	v_mov_b64_e32 v[4:5], v[12:13]
	v_dual_mov_b32 v16, v12 :: v_dual_mov_b32 v17, v13
	s_delay_alu instid0(VALU_DEP_4)
	v_dual_cndmask_b32 v14, v10, v14 :: v_dual_cndmask_b32 v15, v11, v15
.LBB5_34:                               ;   in Loop: Header=BB5_4 Depth=1
	s_or_b32 exec_lo, exec_lo, s4
	s_delay_alu instid0(VALU_DEP_1) | instskip(NEXT) | instid1(VALU_DEP_3)
	v_mov_b64_e32 v[10:11], v[14:15]
	v_dual_mov_b32 v13, v17 :: v_dual_mov_b32 v12, v16
.LBB5_35:                               ;   in Loop: Header=BB5_4 Depth=1
	s_or_b32 exec_lo, exec_lo, s5
	ds_bpermute_b32 v14, v25, v10
	ds_bpermute_b32 v15, v25, v11
	s_wait_dscnt 0x3
	ds_bpermute_b32 v16, v25, v12
	s_wait_dscnt 0x3
	ds_bpermute_b32 v17, v25, v13
	s_mov_b32 s5, exec_lo
	s_wait_dscnt 0x2
	v_cmpx_ne_u64_e32 0, v[14:15]
	s_cbranch_execz .LBB5_39
; %bb.36:                               ;   in Loop: Header=BB5_4 Depth=1
	s_wait_dscnt 0x0
	v_cmp_nlt_f64_e32 vcc_lo, v[4:5], v[16:17]
	v_cmp_ne_u64_e64 s4, 0, v[10:11]
	v_mov_b64_e32 v[22:23], v[16:17]
	s_and_b32 s21, s4, vcc_lo
	s_delay_alu instid0(SALU_CYCLE_1)
	s_and_saveexec_b32 s4, s21
	s_cbranch_execz .LBB5_38
; %bb.37:                               ;   in Loop: Header=BB5_4 Depth=1
	v_min_i64 v[14:15], v[14:15], v[10:11]
	v_cmp_eq_f64_e32 vcc_lo, v[4:5], v[16:17]
	v_mov_b64_e32 v[22:23], v[4:5]
	v_dual_mov_b32 v16, v12 :: v_dual_mov_b32 v17, v13
	s_delay_alu instid0(VALU_DEP_4)
	v_dual_cndmask_b32 v14, v10, v14 :: v_dual_cndmask_b32 v15, v11, v15
.LBB5_38:                               ;   in Loop: Header=BB5_4 Depth=1
	s_or_b32 exec_lo, exec_lo, s4
	s_delay_alu instid0(VALU_DEP_1) | instskip(NEXT) | instid1(VALU_DEP_2)
	v_mov_b64_e32 v[10:11], v[14:15]
	v_mov_b64_e32 v[4:5], v[22:23]
	v_dual_mov_b32 v13, v17 :: v_dual_mov_b32 v12, v16
.LBB5_39:                               ;   in Loop: Header=BB5_4 Depth=1
	s_or_b32 exec_lo, exec_lo, s5
	ds_bpermute_b32 v14, v26, v10
	ds_bpermute_b32 v15, v26, v11
	s_wait_dscnt 0x3
	ds_bpermute_b32 v16, v26, v12
	s_wait_dscnt 0x3
	ds_bpermute_b32 v17, v26, v13
	s_mov_b32 s5, exec_lo
	s_wait_dscnt 0x2
	v_cmpx_ne_u64_e32 0, v[14:15]
	s_cbranch_execz .LBB5_43
; %bb.40:                               ;   in Loop: Header=BB5_4 Depth=1
	s_wait_dscnt 0x0
	v_cmp_nlt_f64_e32 vcc_lo, v[4:5], v[16:17]
	v_cmp_ne_u64_e64 s4, 0, v[10:11]
	v_mov_b64_e32 v[22:23], v[16:17]
	s_and_b32 s21, s4, vcc_lo
	s_delay_alu instid0(SALU_CYCLE_1)
	s_and_saveexec_b32 s4, s21
	s_cbranch_execz .LBB5_42
; %bb.41:                               ;   in Loop: Header=BB5_4 Depth=1
	v_min_i64 v[14:15], v[14:15], v[10:11]
	v_cmp_eq_f64_e32 vcc_lo, v[4:5], v[16:17]
	v_mov_b64_e32 v[22:23], v[4:5]
	v_dual_mov_b32 v16, v12 :: v_dual_mov_b32 v17, v13
	s_delay_alu instid0(VALU_DEP_4)
	v_dual_cndmask_b32 v14, v10, v14 :: v_dual_cndmask_b32 v15, v11, v15
.LBB5_42:                               ;   in Loop: Header=BB5_4 Depth=1
	s_or_b32 exec_lo, exec_lo, s4
	s_delay_alu instid0(VALU_DEP_1) | instskip(NEXT) | instid1(VALU_DEP_2)
	v_mov_b64_e32 v[10:11], v[14:15]
	v_mov_b64_e32 v[4:5], v[22:23]
	v_dual_mov_b32 v13, v17 :: v_dual_mov_b32 v12, v16
.LBB5_43:                               ;   in Loop: Header=BB5_4 Depth=1
	;; [unrolled: 34-line block ×3, first 2 shown]
	s_or_b32 exec_lo, exec_lo, s5
	ds_bpermute_b32 v14, v28, v10
	ds_bpermute_b32 v15, v28, v11
	;; [unrolled: 1-line block ×3, first 2 shown]
	s_wait_dscnt 0x4
	ds_bpermute_b32 v16, v28, v13
	s_mov_b32 s21, exec_lo
	s_wait_dscnt 0x2
	v_cmpx_ne_u64_e32 0, v[14:15]
	s_cbranch_execz .LBB5_49
; %bb.48:                               ;   in Loop: Header=BB5_4 Depth=1
	v_min_i64 v[22:23], v[14:15], v[10:11]
	s_wait_dscnt 0x0
	v_mov_b32_e32 v13, v16
	v_cmp_eq_u64_e64 s5, 0, v[10:11]
	s_delay_alu instid0(VALU_DEP_2) | instskip(NEXT) | instid1(VALU_DEP_4)
	v_cmp_eq_f64_e32 vcc_lo, v[4:5], v[12:13]
	v_cndmask_b32_e32 v3, v10, v22, vcc_lo
	v_cmp_lt_f64_e64 s4, v[4:5], v[12:13]
	v_cndmask_b32_e32 v10, v11, v23, vcc_lo
	s_or_b32 vcc_lo, s5, s4
	s_delay_alu instid0(VALU_DEP_1) | instid1(SALU_CYCLE_1)
	v_dual_cndmask_b32 v5, v5, v16, vcc_lo :: v_dual_cndmask_b32 v11, v10, v15, vcc_lo
	v_dual_cndmask_b32 v10, v3, v14, vcc_lo :: v_dual_cndmask_b32 v4, v4, v12, vcc_lo
.LBB5_49:                               ;   in Loop: Header=BB5_4 Depth=1
	s_or_b32 exec_lo, exec_lo, s21
	s_wait_dscnt 0x1
	s_delay_alu instid0(VALU_DEP_1)
	v_mov_b64_e32 v[12:13], v[4:5]
.LBB5_50:                               ;   in Loop: Header=BB5_4 Depth=1
	s_or_b32 exec_lo, exec_lo, s20
	s_wait_dscnt 0x0
	v_cmp_ne_u64_e32 vcc_lo, 0, v[10:11]
	s_and_b32 s4, s19, vcc_lo
	s_delay_alu instid0(SALU_CYCLE_1)
	s_and_saveexec_b32 s5, s4
	s_cbranch_execz .LBB5_3
; %bb.51:                               ;   in Loop: Header=BB5_4 Depth=1
	v_cmp_ngt_f64_e32 vcc_lo, v[12:13], v[8:9]
	v_cmp_ne_u64_e64 s4, 0, v[6:7]
	v_mov_b64_e32 v[4:5], v[12:13]
	s_and_b32 s20, s4, vcc_lo
	s_delay_alu instid0(SALU_CYCLE_1)
	s_and_saveexec_b32 s4, s20
	s_cbranch_execz .LBB5_2
; %bb.52:                               ;   in Loop: Header=BB5_4 Depth=1
	v_min_i64 v[4:5], v[10:11], v[6:7]
	v_cmp_eq_f64_e32 vcc_lo, v[8:9], v[12:13]
	s_delay_alu instid0(VALU_DEP_2)
	v_dual_cndmask_b32 v11, v7, v5 :: v_dual_cndmask_b32 v10, v6, v4
	v_mov_b64_e32 v[4:5], v[8:9]
	s_branch .LBB5_2
.LBB5_53:
	v_mov_b64_e32 v[6:7], 0
.LBB5_54:
	s_mov_b32 s3, 0
	s_mov_b32 s2, exec_lo
	v_cmpx_eq_u32_e32 0, v0
	s_cbranch_execz .LBB5_56
; %bb.55:
	s_load_b32 s2, s[0:1], 0x30
	v_mov_b32_e32 v0, s18
	s_wait_kmcnt 0x0
	s_mul_u64 s[0:1], s[2:3], s[16:17]
	s_delay_alu instid0(SALU_CYCLE_1) | instskip(NEXT) | instid1(SALU_CYCLE_1)
	s_lshl_b64 s[0:1], s[0:1], 4
	s_add_nc_u64 s[0:1], s[6:7], s[0:1]
	global_store_b128 v0, v[6:9], s[0:1] scale_offset
.LBB5_56:
	s_endpgm
	.section	.rodata,"a",@progbits
	.p2align	6, 0x0
	.amdhsa_kernel _ZL35rocblas_iamax_iamin_kernel_part1_64ILi1024E26rocblas_fetch_amax_amin_64IdE22rocblas_reduce_amax_64PK19rocblas_complex_numIdE24rocblas_index_64_value_tIdEEvlT2_lllPT3_
		.amdhsa_group_segment_fixed_size 512
		.amdhsa_private_segment_fixed_size 0
		.amdhsa_kernarg_size 304
		.amdhsa_user_sgpr_count 2
		.amdhsa_user_sgpr_dispatch_ptr 0
		.amdhsa_user_sgpr_queue_ptr 0
		.amdhsa_user_sgpr_kernarg_segment_ptr 1
		.amdhsa_user_sgpr_dispatch_id 0
		.amdhsa_user_sgpr_kernarg_preload_length 0
		.amdhsa_user_sgpr_kernarg_preload_offset 0
		.amdhsa_user_sgpr_private_segment_size 0
		.amdhsa_wavefront_size32 1
		.amdhsa_uses_dynamic_stack 0
		.amdhsa_enable_private_segment 0
		.amdhsa_system_sgpr_workgroup_id_x 1
		.amdhsa_system_sgpr_workgroup_id_y 0
		.amdhsa_system_sgpr_workgroup_id_z 1
		.amdhsa_system_sgpr_workgroup_info 0
		.amdhsa_system_vgpr_workitem_id 0
		.amdhsa_next_free_vgpr 30
		.amdhsa_next_free_sgpr 22
		.amdhsa_named_barrier_count 0
		.amdhsa_reserve_vcc 1
		.amdhsa_float_round_mode_32 0
		.amdhsa_float_round_mode_16_64 0
		.amdhsa_float_denorm_mode_32 3
		.amdhsa_float_denorm_mode_16_64 3
		.amdhsa_fp16_overflow 0
		.amdhsa_memory_ordered 1
		.amdhsa_forward_progress 1
		.amdhsa_inst_pref_size 18
		.amdhsa_round_robin_scheduling 0
		.amdhsa_exception_fp_ieee_invalid_op 0
		.amdhsa_exception_fp_denorm_src 0
		.amdhsa_exception_fp_ieee_div_zero 0
		.amdhsa_exception_fp_ieee_overflow 0
		.amdhsa_exception_fp_ieee_underflow 0
		.amdhsa_exception_fp_ieee_inexact 0
		.amdhsa_exception_int_div_zero 0
	.end_amdhsa_kernel
	.section	.text._ZL35rocblas_iamax_iamin_kernel_part1_64ILi1024E26rocblas_fetch_amax_amin_64IdE22rocblas_reduce_amax_64PK19rocblas_complex_numIdE24rocblas_index_64_value_tIdEEvlT2_lllPT3_,"axG",@progbits,_ZL35rocblas_iamax_iamin_kernel_part1_64ILi1024E26rocblas_fetch_amax_amin_64IdE22rocblas_reduce_amax_64PK19rocblas_complex_numIdE24rocblas_index_64_value_tIdEEvlT2_lllPT3_,comdat
.Lfunc_end5:
	.size	_ZL35rocblas_iamax_iamin_kernel_part1_64ILi1024E26rocblas_fetch_amax_amin_64IdE22rocblas_reduce_amax_64PK19rocblas_complex_numIdE24rocblas_index_64_value_tIdEEvlT2_lllPT3_, .Lfunc_end5-_ZL35rocblas_iamax_iamin_kernel_part1_64ILi1024E26rocblas_fetch_amax_amin_64IdE22rocblas_reduce_amax_64PK19rocblas_complex_numIdE24rocblas_index_64_value_tIdEEvlT2_lllPT3_
                                        ; -- End function
	.set _ZL35rocblas_iamax_iamin_kernel_part1_64ILi1024E26rocblas_fetch_amax_amin_64IdE22rocblas_reduce_amax_64PK19rocblas_complex_numIdE24rocblas_index_64_value_tIdEEvlT2_lllPT3_.num_vgpr, 30
	.set _ZL35rocblas_iamax_iamin_kernel_part1_64ILi1024E26rocblas_fetch_amax_amin_64IdE22rocblas_reduce_amax_64PK19rocblas_complex_numIdE24rocblas_index_64_value_tIdEEvlT2_lllPT3_.num_agpr, 0
	.set _ZL35rocblas_iamax_iamin_kernel_part1_64ILi1024E26rocblas_fetch_amax_amin_64IdE22rocblas_reduce_amax_64PK19rocblas_complex_numIdE24rocblas_index_64_value_tIdEEvlT2_lllPT3_.numbered_sgpr, 22
	.set _ZL35rocblas_iamax_iamin_kernel_part1_64ILi1024E26rocblas_fetch_amax_amin_64IdE22rocblas_reduce_amax_64PK19rocblas_complex_numIdE24rocblas_index_64_value_tIdEEvlT2_lllPT3_.num_named_barrier, 0
	.set _ZL35rocblas_iamax_iamin_kernel_part1_64ILi1024E26rocblas_fetch_amax_amin_64IdE22rocblas_reduce_amax_64PK19rocblas_complex_numIdE24rocblas_index_64_value_tIdEEvlT2_lllPT3_.private_seg_size, 0
	.set _ZL35rocblas_iamax_iamin_kernel_part1_64ILi1024E26rocblas_fetch_amax_amin_64IdE22rocblas_reduce_amax_64PK19rocblas_complex_numIdE24rocblas_index_64_value_tIdEEvlT2_lllPT3_.uses_vcc, 1
	.set _ZL35rocblas_iamax_iamin_kernel_part1_64ILi1024E26rocblas_fetch_amax_amin_64IdE22rocblas_reduce_amax_64PK19rocblas_complex_numIdE24rocblas_index_64_value_tIdEEvlT2_lllPT3_.uses_flat_scratch, 0
	.set _ZL35rocblas_iamax_iamin_kernel_part1_64ILi1024E26rocblas_fetch_amax_amin_64IdE22rocblas_reduce_amax_64PK19rocblas_complex_numIdE24rocblas_index_64_value_tIdEEvlT2_lllPT3_.has_dyn_sized_stack, 0
	.set _ZL35rocblas_iamax_iamin_kernel_part1_64ILi1024E26rocblas_fetch_amax_amin_64IdE22rocblas_reduce_amax_64PK19rocblas_complex_numIdE24rocblas_index_64_value_tIdEEvlT2_lllPT3_.has_recursion, 0
	.set _ZL35rocblas_iamax_iamin_kernel_part1_64ILi1024E26rocblas_fetch_amax_amin_64IdE22rocblas_reduce_amax_64PK19rocblas_complex_numIdE24rocblas_index_64_value_tIdEEvlT2_lllPT3_.has_indirect_call, 0
	.section	.AMDGPU.csdata,"",@progbits
; Kernel info:
; codeLenInByte = 2272
; TotalNumSgprs: 24
; NumVgprs: 30
; ScratchSize: 0
; MemoryBound: 0
; FloatMode: 240
; IeeeMode: 1
; LDSByteSize: 512 bytes/workgroup (compile time only)
; SGPRBlocks: 0
; VGPRBlocks: 1
; NumSGPRsForWavesPerEU: 24
; NumVGPRsForWavesPerEU: 30
; NamedBarCnt: 0
; Occupancy: 16
; WaveLimiterHint : 0
; COMPUTE_PGM_RSRC2:SCRATCH_EN: 0
; COMPUTE_PGM_RSRC2:USER_SGPR: 2
; COMPUTE_PGM_RSRC2:TRAP_HANDLER: 0
; COMPUTE_PGM_RSRC2:TGID_X_EN: 1
; COMPUTE_PGM_RSRC2:TGID_Y_EN: 0
; COMPUTE_PGM_RSRC2:TGID_Z_EN: 1
; COMPUTE_PGM_RSRC2:TIDIG_COMP_CNT: 0
	.section	.text._ZL35rocblas_iamax_iamin_kernel_part1_64ILi1024E26rocblas_fetch_amax_amin_64IfE22rocblas_reduce_amax_64PKPKf24rocblas_index_64_value_tIfEEvlT2_lllPT3_,"axG",@progbits,_ZL35rocblas_iamax_iamin_kernel_part1_64ILi1024E26rocblas_fetch_amax_amin_64IfE22rocblas_reduce_amax_64PKPKf24rocblas_index_64_value_tIfEEvlT2_lllPT3_,comdat
	.globl	_ZL35rocblas_iamax_iamin_kernel_part1_64ILi1024E26rocblas_fetch_amax_amin_64IfE22rocblas_reduce_amax_64PKPKf24rocblas_index_64_value_tIfEEvlT2_lllPT3_ ; -- Begin function _ZL35rocblas_iamax_iamin_kernel_part1_64ILi1024E26rocblas_fetch_amax_amin_64IfE22rocblas_reduce_amax_64PKPKf24rocblas_index_64_value_tIfEEvlT2_lllPT3_
	.p2align	8
	.type	_ZL35rocblas_iamax_iamin_kernel_part1_64ILi1024E26rocblas_fetch_amax_amin_64IfE22rocblas_reduce_amax_64PKPKf24rocblas_index_64_value_tIfEEvlT2_lllPT3_,@function
_ZL35rocblas_iamax_iamin_kernel_part1_64ILi1024E26rocblas_fetch_amax_amin_64IfE22rocblas_reduce_amax_64PKPKf24rocblas_index_64_value_tIfEEvlT2_lllPT3_: ; @_ZL35rocblas_iamax_iamin_kernel_part1_64ILi1024E26rocblas_fetch_amax_amin_64IfE22rocblas_reduce_amax_64PKPKf24rocblas_index_64_value_tIfEEvlT2_lllPT3_
; %bb.0:
	s_load_b256 s[8:15], s[0:1], 0x0
	s_bfe_u32 s2, ttmp6, 0x40014
	s_lshr_b32 s3, ttmp7, 16
	s_add_co_i32 s2, s2, 1
	s_bfe_u32 s5, ttmp6, 0x4000c
	s_mul_i32 s2, s3, s2
	s_bfe_u32 s4, ttmp6, 0x40008
	s_add_co_i32 s5, s5, 1
	s_add_co_i32 s4, s4, s2
	s_and_b32 s2, ttmp6, 15
	s_mul_i32 s5, ttmp9, s5
	s_getreg_b32 s6, hwreg(HW_REG_IB_STS2, 6, 4)
	s_add_co_i32 s2, s2, s5
	s_cmp_eq_u32 s6, 0
	s_mov_b32 s17, 0
	s_cselect_b32 s6, ttmp9, s2
	s_cselect_b32 s16, s3, s4
	s_wait_kmcnt 0x0
	v_cmp_lt_i64_e64 s7, s[8:9], 1
	s_and_b32 vcc_lo, exec_lo, s7
	s_cbranch_vccnz .LBB6_53
; %bb.1:
	v_lshl_or_b32 v6, s6, 10, v0
	v_dual_mov_b32 v7, 0 :: v_dual_bitop2_b32 v2, 31, v0 bitop3:0x40
	v_mbcnt_lo_u32_b32 v3, -1, 0
	s_load_b64 s[4:5], s[10:11], s16 offset:0x0 scale_offset
	s_load_b32 s7, s[0:1], 0x30
	s_delay_alu instid0(VALU_DEP_2)
	v_mul_u64_e32 v[10:11], s[14:15], v[6:7]
	v_lshlrev_b32_e32 v1, 4, v2
	v_cmp_gt_u32_e32 vcc_lo, 24, v3
	s_lshl_b64 s[12:13], s[12:13], 2
	v_lshl_or_b32 v5, v3, 2, 64
	v_cmp_eq_u32_e64 s3, 0, v2
	s_wait_xcnt 0x0
	s_mov_b32 s11, s17
	v_cndmask_b32_e64 v4, 0, 8, vcc_lo
	v_cmp_gt_u32_e32 vcc_lo, 28, v3
	v_cmp_gt_u32_e64 s2, 32, v0
                                        ; implicit-def: $vgpr21
	s_delay_alu instid0(VALU_DEP_3) | instskip(SKIP_3) | instid1(VALU_DEP_3)
	v_add_lshl_u32 v16, v4, v3, 2
	v_cndmask_b32_e64 v8, 0, 4, vcc_lo
	v_cmp_gt_u32_e32 vcc_lo, 30, v3
	v_lshrrev_b32_e32 v4, 1, v0
	v_add_lshl_u32 v17, v8, v3, 2
	v_cndmask_b32_e64 v9, 0, 2, vcc_lo
	v_cmp_ne_u32_e32 vcc_lo, 31, v3
	s_delay_alu instid0(VALU_DEP_4)
	v_and_b32_e32 v20, 0x1f0, v4
	s_wait_kmcnt 0x0
	s_add_nc_u64 s[4:5], s[4:5], s[12:13]
	s_lshl_b32 s10, s7, 10
	v_add_lshl_u32 v18, v9, v3, 2
	v_add_co_ci_u32_e64 v12, null, 0, v3, vcc_lo
	v_cmp_ne_u32_e32 vcc_lo, 0, v0
	v_mov_b64_e32 v[8:9], 0
	v_mov_b64_e32 v[2:3], 0
	s_delay_alu instid0(VALU_DEP_4)
	v_lshlrev_b32_e32 v19, 2, v12
	s_mul_u64 s[12:13], s[14:15], s[10:11]
	v_lshl_add_u64 v[10:11], v[10:11], 2, s[4:5]
	s_lshl_b64 s[12:13], s[12:13], 2
	s_mov_b64 s[14:15], 0
	s_xor_b32 s7, vcc_lo, -1
	s_branch .LBB6_4
.LBB6_2:                                ;   in Loop: Header=BB6_4 Depth=1
	s_or_b32 exec_lo, exec_lo, s4
	s_delay_alu instid0(VALU_DEP_1)
	v_mov_b64_e32 v[2:3], v[12:13]
	v_mov_b32_e32 v4, v14
.LBB6_3:                                ;   in Loop: Header=BB6_4 Depth=1
	s_or_b32 exec_lo, exec_lo, s5
	s_add_nc_u64 s[14:15], s[14:15], s[10:11]
	v_add_nc_u64_e32 v[10:11], s[12:13], v[10:11]
	v_cmp_ge_i64_e64 s4, s[14:15], s[8:9]
	s_and_b32 vcc_lo, exec_lo, s4
	s_cbranch_vccnz .LBB6_54
.LBB6_4:                                ; =>This Inner Loop Header: Depth=1
	v_add_nc_u64_e32 v[14:15], s[14:15], v[6:7]
	v_mov_b64_e32 v[12:13], 0
	s_mov_b32 s4, exec_lo
	s_delay_alu instid0(VALU_DEP_2)
	v_cmpx_gt_i64_e64 s[8:9], v[14:15]
	s_cbranch_execz .LBB6_6
; %bb.5:                                ;   in Loop: Header=BB6_4 Depth=1
	s_wait_dscnt 0x0
	flat_load_b32 v21, v[10:11]
	v_add_nc_u64_e32 v[12:13], 1, v[14:15]
	s_wait_loadcnt_dscnt 0x0
	v_cmp_gt_f32_e32 vcc_lo, 0, v21
	v_cndmask_b32_e64 v21, v21, -v21, vcc_lo
.LBB6_6:                                ;   in Loop: Header=BB6_4 Depth=1
	s_wait_xcnt 0x0
	s_or_b32 exec_lo, exec_lo, s4
	s_and_saveexec_b32 s4, s2
	s_cbranch_execz .LBB6_8
; %bb.7:                                ;   in Loop: Header=BB6_4 Depth=1
	ds_store_b64 v1, v[8:9]
	ds_store_b32 v1, v7 offset:8
.LBB6_8:                                ;   in Loop: Header=BB6_4 Depth=1
	s_or_b32 exec_lo, exec_lo, s4
	ds_bpermute_b32 v14, v5, v12
	ds_bpermute_b32 v15, v5, v13
	s_wait_dscnt 0x2
	ds_bpermute_b32 v23, v5, v21
	v_mov_b32_e32 v22, v21
	s_mov_b32 s5, exec_lo
	s_wait_dscnt 0x0
	s_barrier_signal -1
	s_barrier_wait -1
	v_cmpx_ne_u64_e32 0, v[14:15]
	s_cbranch_execz .LBB6_12
; %bb.9:                                ;   in Loop: Header=BB6_4 Depth=1
	v_cmp_ne_u64_e32 vcc_lo, 0, v[12:13]
	v_cmp_nlt_f32_e64 s4, v21, v23
	s_and_b32 s18, vcc_lo, s4
	s_delay_alu instid0(SALU_CYCLE_1)
	s_and_saveexec_b32 s4, s18
	s_cbranch_execz .LBB6_11
; %bb.10:                               ;   in Loop: Header=BB6_4 Depth=1
	v_min_i64 v[14:15], v[14:15], v[12:13]
	v_cmp_eq_f32_e32 vcc_lo, v21, v23
	v_mov_b32_e32 v23, v21
	s_delay_alu instid0(VALU_DEP_3)
	v_dual_cndmask_b32 v15, v13, v15 :: v_dual_cndmask_b32 v14, v12, v14
.LBB6_11:                               ;   in Loop: Header=BB6_4 Depth=1
	s_or_b32 exec_lo, exec_lo, s4
	s_delay_alu instid0(VALU_DEP_1) | instskip(NEXT) | instid1(VALU_DEP_3)
	v_mov_b64_e32 v[12:13], v[14:15]
	v_dual_mov_b32 v21, v23 :: v_dual_mov_b32 v22, v23
.LBB6_12:                               ;   in Loop: Header=BB6_4 Depth=1
	s_or_b32 exec_lo, exec_lo, s5
	ds_bpermute_b32 v14, v16, v12
	ds_bpermute_b32 v15, v16, v13
	;; [unrolled: 1-line block ×3, first 2 shown]
	s_mov_b32 s5, exec_lo
	s_wait_dscnt 0x1
	v_cmpx_ne_u64_e32 0, v[14:15]
	s_cbranch_execz .LBB6_16
; %bb.13:                               ;   in Loop: Header=BB6_4 Depth=1
	v_cmp_ne_u64_e32 vcc_lo, 0, v[12:13]
	s_wait_dscnt 0x0
	v_cmp_nlt_f32_e64 s4, v22, v23
	v_mov_b32_e32 v24, v23
	s_and_b32 s18, vcc_lo, s4
	s_delay_alu instid0(SALU_CYCLE_1)
	s_and_saveexec_b32 s4, s18
	s_cbranch_execz .LBB6_15
; %bb.14:                               ;   in Loop: Header=BB6_4 Depth=1
	v_min_i64 v[14:15], v[14:15], v[12:13]
	v_cmp_eq_f32_e32 vcc_lo, v22, v23
	v_dual_mov_b32 v24, v22 :: v_dual_mov_b32 v23, v21
	s_delay_alu instid0(VALU_DEP_3)
	v_dual_cndmask_b32 v14, v12, v14 :: v_dual_cndmask_b32 v15, v13, v15
.LBB6_15:                               ;   in Loop: Header=BB6_4 Depth=1
	s_or_b32 exec_lo, exec_lo, s4
	s_delay_alu instid0(VALU_DEP_1) | instskip(NEXT) | instid1(VALU_DEP_2)
	v_mov_b64_e32 v[12:13], v[14:15]
	v_dual_mov_b32 v21, v23 :: v_dual_mov_b32 v22, v24
.LBB6_16:                               ;   in Loop: Header=BB6_4 Depth=1
	s_or_b32 exec_lo, exec_lo, s5
	ds_bpermute_b32 v14, v17, v12
	ds_bpermute_b32 v15, v17, v13
	s_wait_dscnt 0x2
	ds_bpermute_b32 v23, v17, v21
	s_mov_b32 s5, exec_lo
	s_wait_dscnt 0x1
	v_cmpx_ne_u64_e32 0, v[14:15]
	s_cbranch_execz .LBB6_20
; %bb.17:                               ;   in Loop: Header=BB6_4 Depth=1
	v_cmp_ne_u64_e32 vcc_lo, 0, v[12:13]
	s_wait_dscnt 0x0
	v_cmp_nlt_f32_e64 s4, v22, v23
	v_mov_b32_e32 v24, v23
	s_and_b32 s18, vcc_lo, s4
	s_delay_alu instid0(SALU_CYCLE_1)
	s_and_saveexec_b32 s4, s18
	s_cbranch_execz .LBB6_19
; %bb.18:                               ;   in Loop: Header=BB6_4 Depth=1
	v_min_i64 v[14:15], v[14:15], v[12:13]
	v_cmp_eq_f32_e32 vcc_lo, v22, v23
	v_dual_mov_b32 v24, v22 :: v_dual_mov_b32 v23, v21
	s_delay_alu instid0(VALU_DEP_3)
	v_dual_cndmask_b32 v14, v12, v14 :: v_dual_cndmask_b32 v15, v13, v15
.LBB6_19:                               ;   in Loop: Header=BB6_4 Depth=1
	s_or_b32 exec_lo, exec_lo, s4
	s_delay_alu instid0(VALU_DEP_1) | instskip(NEXT) | instid1(VALU_DEP_2)
	v_mov_b64_e32 v[12:13], v[14:15]
	v_dual_mov_b32 v21, v23 :: v_dual_mov_b32 v22, v24
.LBB6_20:                               ;   in Loop: Header=BB6_4 Depth=1
	s_or_b32 exec_lo, exec_lo, s5
	ds_bpermute_b32 v14, v18, v12
	ds_bpermute_b32 v15, v18, v13
	s_wait_dscnt 0x2
	ds_bpermute_b32 v23, v18, v21
	s_mov_b32 s5, exec_lo
	s_wait_dscnt 0x1
	v_cmpx_ne_u64_e32 0, v[14:15]
	s_cbranch_execz .LBB6_24
; %bb.21:                               ;   in Loop: Header=BB6_4 Depth=1
	v_cmp_ne_u64_e32 vcc_lo, 0, v[12:13]
	s_wait_dscnt 0x0
	v_cmp_nlt_f32_e64 s4, v22, v23
	v_mov_b32_e32 v24, v23
	s_and_b32 s18, vcc_lo, s4
	s_delay_alu instid0(SALU_CYCLE_1)
	s_and_saveexec_b32 s4, s18
	s_cbranch_execz .LBB6_23
; %bb.22:                               ;   in Loop: Header=BB6_4 Depth=1
	v_min_i64 v[14:15], v[14:15], v[12:13]
	v_cmp_eq_f32_e32 vcc_lo, v22, v23
	v_dual_mov_b32 v24, v22 :: v_dual_mov_b32 v23, v21
	s_delay_alu instid0(VALU_DEP_3)
	v_dual_cndmask_b32 v14, v12, v14 :: v_dual_cndmask_b32 v15, v13, v15
.LBB6_23:                               ;   in Loop: Header=BB6_4 Depth=1
	s_or_b32 exec_lo, exec_lo, s4
	s_delay_alu instid0(VALU_DEP_1) | instskip(NEXT) | instid1(VALU_DEP_2)
	v_mov_b64_e32 v[12:13], v[14:15]
	v_dual_mov_b32 v21, v23 :: v_dual_mov_b32 v22, v24
.LBB6_24:                               ;   in Loop: Header=BB6_4 Depth=1
	s_or_b32 exec_lo, exec_lo, s5
	ds_bpermute_b32 v14, v19, v12
	ds_bpermute_b32 v15, v19, v13
	;; [unrolled: 1-line block ×3, first 2 shown]
	s_mov_b32 s18, exec_lo
	s_wait_dscnt 0x1
	v_cmpx_ne_u64_e32 0, v[14:15]
	s_cbranch_execz .LBB6_26
; %bb.25:                               ;   in Loop: Header=BB6_4 Depth=1
	v_min_i64 v[24:25], v[14:15], v[12:13]
	s_wait_dscnt 0x0
	v_cmp_eq_f32_e32 vcc_lo, v22, v21
	v_cmp_eq_u64_e64 s4, 0, v[12:13]
	v_cmp_lt_f32_e64 s5, v22, v21
	s_delay_alu instid0(VALU_DEP_4)
	v_dual_cndmask_b32 v12, v12, v24 :: v_dual_cndmask_b32 v13, v13, v25
	s_or_b32 vcc_lo, s4, s5
	s_delay_alu instid0(VALU_DEP_1) | instid1(SALU_CYCLE_1)
	v_dual_cndmask_b32 v22, v22, v21, vcc_lo :: v_dual_cndmask_b32 v12, v12, v14, vcc_lo
	s_delay_alu instid0(VALU_DEP_2)
	v_cndmask_b32_e32 v13, v13, v15, vcc_lo
.LBB6_26:                               ;   in Loop: Header=BB6_4 Depth=1
	s_or_b32 exec_lo, exec_lo, s18
	s_and_saveexec_b32 s4, s3
	s_cbranch_execz .LBB6_28
; %bb.27:                               ;   in Loop: Header=BB6_4 Depth=1
	ds_store_b64 v20, v[12:13]
	ds_store_b32 v20, v22 offset:8
.LBB6_28:                               ;   in Loop: Header=BB6_4 Depth=1
	s_or_b32 exec_lo, exec_lo, s4
	v_mov_b64_e32 v[12:13], 0
	s_wait_dscnt 0x0
	v_mov_b32_e32 v21, 0
	s_barrier_signal -1
	s_barrier_wait -1
	s_and_saveexec_b32 s4, s2
	s_cbranch_execz .LBB6_30
; %bb.29:                               ;   in Loop: Header=BB6_4 Depth=1
	ds_load_b64 v[12:13], v1
	ds_load_b32 v21, v1 offset:8
.LBB6_30:                               ;   in Loop: Header=BB6_4 Depth=1
	s_or_b32 exec_lo, exec_lo, s4
	s_and_saveexec_b32 s18, s2
	s_cbranch_execz .LBB6_50
; %bb.31:                               ;   in Loop: Header=BB6_4 Depth=1
	s_wait_dscnt 0x1
	ds_bpermute_b32 v14, v5, v12
	ds_bpermute_b32 v15, v5, v13
	s_wait_dscnt 0x2
	ds_bpermute_b32 v23, v5, v21
	v_mov_b32_e32 v22, v21
	s_mov_b32 s5, exec_lo
	s_wait_dscnt 0x1
	v_cmpx_ne_u64_e32 0, v[14:15]
	s_cbranch_execz .LBB6_35
; %bb.32:                               ;   in Loop: Header=BB6_4 Depth=1
	v_cmp_ne_u64_e32 vcc_lo, 0, v[12:13]
	s_wait_dscnt 0x0
	v_cmp_nlt_f32_e64 s4, v21, v23
	s_and_b32 s19, vcc_lo, s4
	s_delay_alu instid0(SALU_CYCLE_1)
	s_and_saveexec_b32 s4, s19
	s_cbranch_execz .LBB6_34
; %bb.33:                               ;   in Loop: Header=BB6_4 Depth=1
	v_min_i64 v[14:15], v[14:15], v[12:13]
	v_cmp_eq_f32_e32 vcc_lo, v21, v23
	v_mov_b32_e32 v23, v21
	s_delay_alu instid0(VALU_DEP_3)
	v_dual_cndmask_b32 v15, v13, v15 :: v_dual_cndmask_b32 v14, v12, v14
.LBB6_34:                               ;   in Loop: Header=BB6_4 Depth=1
	s_or_b32 exec_lo, exec_lo, s4
	s_delay_alu instid0(VALU_DEP_1) | instskip(NEXT) | instid1(VALU_DEP_3)
	v_mov_b64_e32 v[12:13], v[14:15]
	v_dual_mov_b32 v21, v23 :: v_dual_mov_b32 v22, v23
.LBB6_35:                               ;   in Loop: Header=BB6_4 Depth=1
	s_or_b32 exec_lo, exec_lo, s5
	ds_bpermute_b32 v14, v16, v12
	ds_bpermute_b32 v15, v16, v13
	s_wait_dscnt 0x2
	ds_bpermute_b32 v23, v16, v21
	s_mov_b32 s5, exec_lo
	s_wait_dscnt 0x1
	v_cmpx_ne_u64_e32 0, v[14:15]
	s_cbranch_execz .LBB6_39
; %bb.36:                               ;   in Loop: Header=BB6_4 Depth=1
	v_cmp_ne_u64_e32 vcc_lo, 0, v[12:13]
	s_wait_dscnt 0x0
	v_cmp_nlt_f32_e64 s4, v22, v23
	v_mov_b32_e32 v24, v23
	s_and_b32 s19, vcc_lo, s4
	s_delay_alu instid0(SALU_CYCLE_1)
	s_and_saveexec_b32 s4, s19
	s_cbranch_execz .LBB6_38
; %bb.37:                               ;   in Loop: Header=BB6_4 Depth=1
	v_min_i64 v[14:15], v[14:15], v[12:13]
	v_cmp_eq_f32_e32 vcc_lo, v22, v23
	v_dual_mov_b32 v24, v22 :: v_dual_mov_b32 v23, v21
	s_delay_alu instid0(VALU_DEP_3)
	v_dual_cndmask_b32 v14, v12, v14 :: v_dual_cndmask_b32 v15, v13, v15
.LBB6_38:                               ;   in Loop: Header=BB6_4 Depth=1
	s_or_b32 exec_lo, exec_lo, s4
	s_delay_alu instid0(VALU_DEP_1) | instskip(NEXT) | instid1(VALU_DEP_2)
	v_mov_b64_e32 v[12:13], v[14:15]
	v_dual_mov_b32 v21, v23 :: v_dual_mov_b32 v22, v24
.LBB6_39:                               ;   in Loop: Header=BB6_4 Depth=1
	s_or_b32 exec_lo, exec_lo, s5
	ds_bpermute_b32 v14, v17, v12
	ds_bpermute_b32 v15, v17, v13
	s_wait_dscnt 0x2
	ds_bpermute_b32 v23, v17, v21
	s_mov_b32 s5, exec_lo
	s_wait_dscnt 0x1
	v_cmpx_ne_u64_e32 0, v[14:15]
	s_cbranch_execz .LBB6_43
; %bb.40:                               ;   in Loop: Header=BB6_4 Depth=1
	v_cmp_ne_u64_e32 vcc_lo, 0, v[12:13]
	s_wait_dscnt 0x0
	v_cmp_nlt_f32_e64 s4, v22, v23
	v_mov_b32_e32 v24, v23
	s_and_b32 s19, vcc_lo, s4
	s_delay_alu instid0(SALU_CYCLE_1)
	s_and_saveexec_b32 s4, s19
	s_cbranch_execz .LBB6_42
; %bb.41:                               ;   in Loop: Header=BB6_4 Depth=1
	v_min_i64 v[14:15], v[14:15], v[12:13]
	v_cmp_eq_f32_e32 vcc_lo, v22, v23
	v_dual_mov_b32 v24, v22 :: v_dual_mov_b32 v23, v21
	s_delay_alu instid0(VALU_DEP_3)
	v_dual_cndmask_b32 v14, v12, v14 :: v_dual_cndmask_b32 v15, v13, v15
.LBB6_42:                               ;   in Loop: Header=BB6_4 Depth=1
	s_or_b32 exec_lo, exec_lo, s4
	s_delay_alu instid0(VALU_DEP_1) | instskip(NEXT) | instid1(VALU_DEP_2)
	v_mov_b64_e32 v[12:13], v[14:15]
	v_dual_mov_b32 v21, v23 :: v_dual_mov_b32 v22, v24
.LBB6_43:                               ;   in Loop: Header=BB6_4 Depth=1
	;; [unrolled: 30-line block ×3, first 2 shown]
	s_or_b32 exec_lo, exec_lo, s5
	ds_bpermute_b32 v14, v19, v12
	ds_bpermute_b32 v15, v19, v13
	;; [unrolled: 1-line block ×3, first 2 shown]
	s_mov_b32 s19, exec_lo
	s_wait_dscnt 0x1
	v_cmpx_ne_u64_e32 0, v[14:15]
	s_cbranch_execz .LBB6_49
; %bb.48:                               ;   in Loop: Header=BB6_4 Depth=1
	v_min_i64 v[24:25], v[14:15], v[12:13]
	s_wait_dscnt 0x0
	v_cmp_eq_f32_e32 vcc_lo, v22, v21
	v_cmp_eq_u64_e64 s4, 0, v[12:13]
	v_cmp_lt_f32_e64 s5, v22, v21
	s_delay_alu instid0(VALU_DEP_4)
	v_dual_cndmask_b32 v12, v12, v24 :: v_dual_cndmask_b32 v13, v13, v25
	s_or_b32 vcc_lo, s4, s5
	s_delay_alu instid0(VALU_DEP_1) | instid1(SALU_CYCLE_1)
	v_dual_cndmask_b32 v22, v22, v21, vcc_lo :: v_dual_cndmask_b32 v12, v12, v14, vcc_lo
	s_delay_alu instid0(VALU_DEP_2)
	v_cndmask_b32_e32 v13, v13, v15, vcc_lo
.LBB6_49:                               ;   in Loop: Header=BB6_4 Depth=1
	s_or_b32 exec_lo, exec_lo, s19
	s_wait_dscnt 0x0
	s_delay_alu instid0(VALU_DEP_2)
	v_mov_b32_e32 v21, v22
.LBB6_50:                               ;   in Loop: Header=BB6_4 Depth=1
	s_or_b32 exec_lo, exec_lo, s18
	s_wait_dscnt 0x1
	v_cmp_ne_u64_e32 vcc_lo, 0, v[12:13]
	s_and_b32 s4, s7, vcc_lo
	s_delay_alu instid0(SALU_CYCLE_1)
	s_and_saveexec_b32 s5, s4
	s_cbranch_execz .LBB6_3
; %bb.51:                               ;   in Loop: Header=BB6_4 Depth=1
	v_cmp_ne_u64_e32 vcc_lo, 0, v[2:3]
	s_wait_dscnt 0x0
	v_cmp_ngt_f32_e64 s4, v21, v4
	v_mov_b32_e32 v14, v21
	s_and_b32 s18, vcc_lo, s4
	s_delay_alu instid0(SALU_CYCLE_1)
	s_and_saveexec_b32 s4, s18
	s_cbranch_execz .LBB6_2
; %bb.52:                               ;   in Loop: Header=BB6_4 Depth=1
	v_min_i64 v[12:13], v[12:13], v[2:3]
	v_cmp_eq_f32_e32 vcc_lo, v4, v21
	s_delay_alu instid0(VALU_DEP_2) | instskip(NEXT) | instid1(VALU_DEP_3)
	v_dual_mov_b32 v14, v4 :: v_dual_cndmask_b32 v13, v3, v13
	v_cndmask_b32_e32 v12, v2, v12, vcc_lo
	s_branch .LBB6_2
.LBB6_53:
	v_mov_b64_e32 v[2:3], 0
.LBB6_54:
	s_mov_b32 s3, 0
	s_mov_b32 s2, exec_lo
	v_cmpx_eq_u32_e32 0, v0
	s_cbranch_execz .LBB6_56
; %bb.55:
	s_load_b96 s[8:10], s[0:1], 0x28
	s_mov_b32 s7, s3
	v_mov_b32_e32 v0, 0
	s_wait_kmcnt 0x0
	s_mov_b32 s2, s10
	s_delay_alu instid0(SALU_CYCLE_1) | instskip(SKIP_2) | instid1(SALU_CYCLE_1)
	s_mul_u64 s[0:1], s[2:3], s[16:17]
	s_lshl_b64 s[2:3], s[6:7], 4
	s_lshl_b64 s[0:1], s[0:1], 4
	s_add_nc_u64 s[0:1], s[8:9], s[0:1]
	s_delay_alu instid0(SALU_CYCLE_1)
	s_add_nc_u64 s[0:1], s[0:1], s[2:3]
	global_store_b96 v0, v[2:4], s[0:1]
.LBB6_56:
	s_endpgm
	.section	.rodata,"a",@progbits
	.p2align	6, 0x0
	.amdhsa_kernel _ZL35rocblas_iamax_iamin_kernel_part1_64ILi1024E26rocblas_fetch_amax_amin_64IfE22rocblas_reduce_amax_64PKPKf24rocblas_index_64_value_tIfEEvlT2_lllPT3_
		.amdhsa_group_segment_fixed_size 512
		.amdhsa_private_segment_fixed_size 0
		.amdhsa_kernarg_size 304
		.amdhsa_user_sgpr_count 2
		.amdhsa_user_sgpr_dispatch_ptr 0
		.amdhsa_user_sgpr_queue_ptr 0
		.amdhsa_user_sgpr_kernarg_segment_ptr 1
		.amdhsa_user_sgpr_dispatch_id 0
		.amdhsa_user_sgpr_kernarg_preload_length 0
		.amdhsa_user_sgpr_kernarg_preload_offset 0
		.amdhsa_user_sgpr_private_segment_size 0
		.amdhsa_wavefront_size32 1
		.amdhsa_uses_dynamic_stack 0
		.amdhsa_enable_private_segment 0
		.amdhsa_system_sgpr_workgroup_id_x 1
		.amdhsa_system_sgpr_workgroup_id_y 0
		.amdhsa_system_sgpr_workgroup_id_z 1
		.amdhsa_system_sgpr_workgroup_info 0
		.amdhsa_system_vgpr_workitem_id 0
		.amdhsa_next_free_vgpr 26
		.amdhsa_next_free_sgpr 20
		.amdhsa_named_barrier_count 0
		.amdhsa_reserve_vcc 1
		.amdhsa_float_round_mode_32 0
		.amdhsa_float_round_mode_16_64 0
		.amdhsa_float_denorm_mode_32 3
		.amdhsa_float_denorm_mode_16_64 3
		.amdhsa_fp16_overflow 0
		.amdhsa_memory_ordered 1
		.amdhsa_forward_progress 1
		.amdhsa_inst_pref_size 17
		.amdhsa_round_robin_scheduling 0
		.amdhsa_exception_fp_ieee_invalid_op 0
		.amdhsa_exception_fp_denorm_src 0
		.amdhsa_exception_fp_ieee_div_zero 0
		.amdhsa_exception_fp_ieee_overflow 0
		.amdhsa_exception_fp_ieee_underflow 0
		.amdhsa_exception_fp_ieee_inexact 0
		.amdhsa_exception_int_div_zero 0
	.end_amdhsa_kernel
	.section	.text._ZL35rocblas_iamax_iamin_kernel_part1_64ILi1024E26rocblas_fetch_amax_amin_64IfE22rocblas_reduce_amax_64PKPKf24rocblas_index_64_value_tIfEEvlT2_lllPT3_,"axG",@progbits,_ZL35rocblas_iamax_iamin_kernel_part1_64ILi1024E26rocblas_fetch_amax_amin_64IfE22rocblas_reduce_amax_64PKPKf24rocblas_index_64_value_tIfEEvlT2_lllPT3_,comdat
.Lfunc_end6:
	.size	_ZL35rocblas_iamax_iamin_kernel_part1_64ILi1024E26rocblas_fetch_amax_amin_64IfE22rocblas_reduce_amax_64PKPKf24rocblas_index_64_value_tIfEEvlT2_lllPT3_, .Lfunc_end6-_ZL35rocblas_iamax_iamin_kernel_part1_64ILi1024E26rocblas_fetch_amax_amin_64IfE22rocblas_reduce_amax_64PKPKf24rocblas_index_64_value_tIfEEvlT2_lllPT3_
                                        ; -- End function
	.set _ZL35rocblas_iamax_iamin_kernel_part1_64ILi1024E26rocblas_fetch_amax_amin_64IfE22rocblas_reduce_amax_64PKPKf24rocblas_index_64_value_tIfEEvlT2_lllPT3_.num_vgpr, 26
	.set _ZL35rocblas_iamax_iamin_kernel_part1_64ILi1024E26rocblas_fetch_amax_amin_64IfE22rocblas_reduce_amax_64PKPKf24rocblas_index_64_value_tIfEEvlT2_lllPT3_.num_agpr, 0
	.set _ZL35rocblas_iamax_iamin_kernel_part1_64ILi1024E26rocblas_fetch_amax_amin_64IfE22rocblas_reduce_amax_64PKPKf24rocblas_index_64_value_tIfEEvlT2_lllPT3_.numbered_sgpr, 20
	.set _ZL35rocblas_iamax_iamin_kernel_part1_64ILi1024E26rocblas_fetch_amax_amin_64IfE22rocblas_reduce_amax_64PKPKf24rocblas_index_64_value_tIfEEvlT2_lllPT3_.num_named_barrier, 0
	.set _ZL35rocblas_iamax_iamin_kernel_part1_64ILi1024E26rocblas_fetch_amax_amin_64IfE22rocblas_reduce_amax_64PKPKf24rocblas_index_64_value_tIfEEvlT2_lllPT3_.private_seg_size, 0
	.set _ZL35rocblas_iamax_iamin_kernel_part1_64ILi1024E26rocblas_fetch_amax_amin_64IfE22rocblas_reduce_amax_64PKPKf24rocblas_index_64_value_tIfEEvlT2_lllPT3_.uses_vcc, 1
	.set _ZL35rocblas_iamax_iamin_kernel_part1_64ILi1024E26rocblas_fetch_amax_amin_64IfE22rocblas_reduce_amax_64PKPKf24rocblas_index_64_value_tIfEEvlT2_lllPT3_.uses_flat_scratch, 0
	.set _ZL35rocblas_iamax_iamin_kernel_part1_64ILi1024E26rocblas_fetch_amax_amin_64IfE22rocblas_reduce_amax_64PKPKf24rocblas_index_64_value_tIfEEvlT2_lllPT3_.has_dyn_sized_stack, 0
	.set _ZL35rocblas_iamax_iamin_kernel_part1_64ILi1024E26rocblas_fetch_amax_amin_64IfE22rocblas_reduce_amax_64PKPKf24rocblas_index_64_value_tIfEEvlT2_lllPT3_.has_recursion, 0
	.set _ZL35rocblas_iamax_iamin_kernel_part1_64ILi1024E26rocblas_fetch_amax_amin_64IfE22rocblas_reduce_amax_64PKPKf24rocblas_index_64_value_tIfEEvlT2_lllPT3_.has_indirect_call, 0
	.section	.AMDGPU.csdata,"",@progbits
; Kernel info:
; codeLenInByte = 2088
; TotalNumSgprs: 22
; NumVgprs: 26
; ScratchSize: 0
; MemoryBound: 0
; FloatMode: 240
; IeeeMode: 1
; LDSByteSize: 512 bytes/workgroup (compile time only)
; SGPRBlocks: 0
; VGPRBlocks: 1
; NumSGPRsForWavesPerEU: 22
; NumVGPRsForWavesPerEU: 26
; NamedBarCnt: 0
; Occupancy: 16
; WaveLimiterHint : 0
; COMPUTE_PGM_RSRC2:SCRATCH_EN: 0
; COMPUTE_PGM_RSRC2:USER_SGPR: 2
; COMPUTE_PGM_RSRC2:TRAP_HANDLER: 0
; COMPUTE_PGM_RSRC2:TGID_X_EN: 1
; COMPUTE_PGM_RSRC2:TGID_Y_EN: 0
; COMPUTE_PGM_RSRC2:TGID_Z_EN: 1
; COMPUTE_PGM_RSRC2:TIDIG_COMP_CNT: 0
	.section	.text._ZL35rocblas_iamax_iamin_kernel_part1_64ILi1024E26rocblas_fetch_amax_amin_64IdE22rocblas_reduce_amax_64PKPKd24rocblas_index_64_value_tIdEEvlT2_lllPT3_,"axG",@progbits,_ZL35rocblas_iamax_iamin_kernel_part1_64ILi1024E26rocblas_fetch_amax_amin_64IdE22rocblas_reduce_amax_64PKPKd24rocblas_index_64_value_tIdEEvlT2_lllPT3_,comdat
	.globl	_ZL35rocblas_iamax_iamin_kernel_part1_64ILi1024E26rocblas_fetch_amax_amin_64IdE22rocblas_reduce_amax_64PKPKd24rocblas_index_64_value_tIdEEvlT2_lllPT3_ ; -- Begin function _ZL35rocblas_iamax_iamin_kernel_part1_64ILi1024E26rocblas_fetch_amax_amin_64IdE22rocblas_reduce_amax_64PKPKd24rocblas_index_64_value_tIdEEvlT2_lllPT3_
	.p2align	8
	.type	_ZL35rocblas_iamax_iamin_kernel_part1_64ILi1024E26rocblas_fetch_amax_amin_64IdE22rocblas_reduce_amax_64PKPKd24rocblas_index_64_value_tIdEEvlT2_lllPT3_,@function
_ZL35rocblas_iamax_iamin_kernel_part1_64ILi1024E26rocblas_fetch_amax_amin_64IdE22rocblas_reduce_amax_64PKPKd24rocblas_index_64_value_tIdEEvlT2_lllPT3_: ; @_ZL35rocblas_iamax_iamin_kernel_part1_64ILi1024E26rocblas_fetch_amax_amin_64IdE22rocblas_reduce_amax_64PKPKd24rocblas_index_64_value_tIdEEvlT2_lllPT3_
; %bb.0:
	s_load_b256 s[8:15], s[0:1], 0x0
	s_bfe_u32 s2, ttmp6, 0x40014
	s_lshr_b32 s3, ttmp7, 16
	s_add_co_i32 s2, s2, 1
	s_bfe_u32 s5, ttmp6, 0x4000c
	s_mul_i32 s2, s3, s2
	s_bfe_u32 s4, ttmp6, 0x40008
	s_add_co_i32 s5, s5, 1
	s_add_co_i32 s4, s4, s2
	s_and_b32 s2, ttmp6, 15
	s_mul_i32 s5, ttmp9, s5
	s_getreg_b32 s6, hwreg(HW_REG_IB_STS2, 6, 4)
	s_add_co_i32 s2, s2, s5
	s_cmp_eq_u32 s6, 0
	s_cselect_b32 s16, ttmp9, s2
	s_cselect_b32 s6, s3, s4
	s_wait_kmcnt 0x0
	v_cmp_lt_i64_e64 s7, s[8:9], 1
	s_and_b32 vcc_lo, exec_lo, s7
	s_mov_b32 s7, 0
	s_cbranch_vccnz .LBB7_53
; %bb.1:
	v_dual_mov_b32 v2, 0 :: v_dual_bitop2_b32 v3, 31, v0 bitop3:0x40
	v_lshl_or_b32 v18, s16, 10, v0
	v_mbcnt_lo_u32_b32 v6, -1, 0
	s_load_b64 s[4:5], s[10:11], s6 offset:0x0 scale_offset
	s_delay_alu instid0(VALU_DEP_3)
	v_dual_mov_b32 v19, v2 :: v_dual_lshlrev_b32 v1, 4, v3
	s_wait_xcnt 0x0
	s_load_b32 s10, s[0:1], 0x30
	v_cmp_gt_u32_e32 vcc_lo, 24, v6
	s_lshl_b64 s[12:13], s[12:13], 3
	v_mul_u64_e32 v[4:5], s[14:15], v[18:19]
	v_lshl_or_b32 v24, v6, 2, 64
	s_mov_b32 s11, s7
	v_cndmask_b32_e64 v7, 0, 8, vcc_lo
	v_cmp_gt_u32_e32 vcc_lo, 28, v6
	v_cmp_gt_u32_e64 s2, 32, v0
	v_cmp_eq_u32_e64 s3, 0, v3
                                        ; implicit-def: $vgpr12_vgpr13
	s_delay_alu instid0(VALU_DEP_4) | instskip(SKIP_2) | instid1(VALU_DEP_2)
	v_add_lshl_u32 v25, v7, v6, 2
	v_cndmask_b32_e64 v8, 0, 4, vcc_lo
	v_cmp_gt_u32_e32 vcc_lo, 30, v6
	v_add_lshl_u32 v26, v8, v6, 2
	v_cndmask_b32_e64 v9, 0, 2, vcc_lo
	v_cmp_ne_u32_e32 vcc_lo, 31, v6
	s_wait_kmcnt 0x0
	s_add_nc_u64 s[4:5], s[4:5], s[12:13]
	s_lshl_b32 s10, s10, 10
	v_add_lshl_u32 v27, v9, v6, 2
	v_add_co_ci_u32_e64 v10, null, 0, v6, vcc_lo
	v_lshrrev_b32_e32 v7, 1, v0
	v_cmp_ne_u32_e32 vcc_lo, 0, v0
	s_mul_u64 s[12:13], s[14:15], s[10:11]
	s_delay_alu instid0(VALU_DEP_3)
	v_lshlrev_b32_e32 v28, 2, v10
	s_lshl_b64 s[12:13], s[12:13], 3
	v_and_b32_e32 v29, 0x1f0, v7
	v_mov_b64_e32 v[6:7], 0
	s_mov_b64 s[14:15], 0
	s_xor_b32 s17, vcc_lo, -1
	v_lshl_add_u64 v[20:21], v[4:5], 3, s[4:5]
	s_branch .LBB7_4
.LBB7_2:                                ;   in Loop: Header=BB7_4 Depth=1
	s_or_b32 exec_lo, exec_lo, s4
	s_delay_alu instid0(VALU_DEP_2) | instskip(NEXT) | instid1(VALU_DEP_2)
	v_mov_b64_e32 v[6:7], v[10:11]
	v_mov_b64_e32 v[8:9], v[4:5]
.LBB7_3:                                ;   in Loop: Header=BB7_4 Depth=1
	s_or_b32 exec_lo, exec_lo, s5
	s_add_nc_u64 s[14:15], s[14:15], s[10:11]
	v_add_nc_u64_e32 v[20:21], s[12:13], v[20:21]
	v_cmp_ge_i64_e64 s4, s[14:15], s[8:9]
	s_and_b32 vcc_lo, exec_lo, s4
	s_cbranch_vccnz .LBB7_54
.LBB7_4:                                ; =>This Inner Loop Header: Depth=1
	v_add_nc_u64_e32 v[4:5], s[14:15], v[18:19]
	v_mov_b64_e32 v[14:15], 0
	s_mov_b32 s4, exec_lo
	s_delay_alu instid0(VALU_DEP_2)
	v_cmpx_gt_i64_e64 s[8:9], v[4:5]
	s_cbranch_execz .LBB7_6
; %bb.5:                                ;   in Loop: Header=BB7_4 Depth=1
	flat_load_b64 v[12:13], v[20:21]
	v_add_nc_u64_e32 v[14:15], 1, v[4:5]
	s_wait_loadcnt_dscnt 0x0
	v_cmp_gt_f64_e32 vcc_lo, 0, v[12:13]
	v_xor_b32_e32 v3, 0x80000000, v13
	s_delay_alu instid0(VALU_DEP_1)
	v_cndmask_b32_e32 v13, v13, v3, vcc_lo
.LBB7_6:                                ;   in Loop: Header=BB7_4 Depth=1
	s_or_b32 exec_lo, exec_lo, s4
	s_and_saveexec_b32 s4, s2
; %bb.7:                                ;   in Loop: Header=BB7_4 Depth=1
	v_dual_mov_b32 v3, v2 :: v_dual_mov_b32 v4, v2
	v_mov_b32_e32 v5, v2
	ds_store_b128 v1, v[2:5]
; %bb.8:                                ;   in Loop: Header=BB7_4 Depth=1
	s_or_b32 exec_lo, exec_lo, s4
	ds_bpermute_b32 v4, v24, v14
	ds_bpermute_b32 v5, v24, v15
	;; [unrolled: 1-line block ×4, first 2 shown]
	v_mov_b64_e32 v[16:17], v[12:13]
	s_mov_b32 s5, exec_lo
	s_wait_dscnt 0x0
	s_barrier_signal -1
	s_barrier_wait -1
	v_cmpx_ne_u64_e32 0, v[4:5]
	s_cbranch_execz .LBB7_12
; %bb.9:                                ;   in Loop: Header=BB7_4 Depth=1
	v_cmp_nlt_f64_e32 vcc_lo, v[12:13], v[10:11]
	v_cmp_ne_u64_e64 s4, 0, v[14:15]
	v_mov_b64_e32 v[16:17], v[10:11]
	s_and_b32 s18, s4, vcc_lo
	s_delay_alu instid0(SALU_CYCLE_1)
	s_and_saveexec_b32 s4, s18
	s_cbranch_execz .LBB7_11
; %bb.10:                               ;   in Loop: Header=BB7_4 Depth=1
	v_min_i64 v[4:5], v[4:5], v[14:15]
	v_cmp_eq_f64_e32 vcc_lo, v[12:13], v[10:11]
	v_mov_b64_e32 v[16:17], v[12:13]
	v_dual_mov_b32 v10, v12 :: v_dual_mov_b32 v11, v13
	s_delay_alu instid0(VALU_DEP_4)
	v_dual_cndmask_b32 v4, v14, v4 :: v_dual_cndmask_b32 v5, v15, v5
.LBB7_11:                               ;   in Loop: Header=BB7_4 Depth=1
	s_or_b32 exec_lo, exec_lo, s4
	s_delay_alu instid0(VALU_DEP_1) | instskip(NEXT) | instid1(VALU_DEP_3)
	v_mov_b64_e32 v[14:15], v[4:5]
	v_dual_mov_b32 v13, v11 :: v_dual_mov_b32 v12, v10
.LBB7_12:                               ;   in Loop: Header=BB7_4 Depth=1
	s_or_b32 exec_lo, exec_lo, s5
	ds_bpermute_b32 v4, v25, v14
	ds_bpermute_b32 v5, v25, v15
	;; [unrolled: 1-line block ×4, first 2 shown]
	s_mov_b32 s5, exec_lo
	s_wait_dscnt 0x2
	v_cmpx_ne_u64_e32 0, v[4:5]
	s_cbranch_execz .LBB7_16
; %bb.13:                               ;   in Loop: Header=BB7_4 Depth=1
	s_wait_dscnt 0x0
	v_cmp_nlt_f64_e32 vcc_lo, v[16:17], v[10:11]
	v_cmp_ne_u64_e64 s4, 0, v[14:15]
	v_mov_b64_e32 v[22:23], v[10:11]
	s_and_b32 s18, s4, vcc_lo
	s_delay_alu instid0(SALU_CYCLE_1)
	s_and_saveexec_b32 s4, s18
	s_cbranch_execz .LBB7_15
; %bb.14:                               ;   in Loop: Header=BB7_4 Depth=1
	v_min_i64 v[4:5], v[4:5], v[14:15]
	v_cmp_eq_f64_e32 vcc_lo, v[16:17], v[10:11]
	v_mov_b64_e32 v[22:23], v[16:17]
	v_dual_mov_b32 v10, v12 :: v_dual_mov_b32 v11, v13
	s_delay_alu instid0(VALU_DEP_4)
	v_dual_cndmask_b32 v4, v14, v4 :: v_dual_cndmask_b32 v5, v15, v5
.LBB7_15:                               ;   in Loop: Header=BB7_4 Depth=1
	s_or_b32 exec_lo, exec_lo, s4
	s_delay_alu instid0(VALU_DEP_1) | instskip(NEXT) | instid1(VALU_DEP_2)
	v_mov_b64_e32 v[14:15], v[4:5]
	v_mov_b64_e32 v[16:17], v[22:23]
	v_dual_mov_b32 v13, v11 :: v_dual_mov_b32 v12, v10
.LBB7_16:                               ;   in Loop: Header=BB7_4 Depth=1
	s_or_b32 exec_lo, exec_lo, s5
	ds_bpermute_b32 v4, v26, v14
	ds_bpermute_b32 v5, v26, v15
	s_wait_dscnt 0x3
	ds_bpermute_b32 v10, v26, v12
	s_wait_dscnt 0x3
	ds_bpermute_b32 v11, v26, v13
	s_mov_b32 s5, exec_lo
	s_wait_dscnt 0x2
	v_cmpx_ne_u64_e32 0, v[4:5]
	s_cbranch_execz .LBB7_20
; %bb.17:                               ;   in Loop: Header=BB7_4 Depth=1
	s_wait_dscnt 0x0
	v_cmp_nlt_f64_e32 vcc_lo, v[16:17], v[10:11]
	v_cmp_ne_u64_e64 s4, 0, v[14:15]
	v_mov_b64_e32 v[22:23], v[10:11]
	s_and_b32 s18, s4, vcc_lo
	s_delay_alu instid0(SALU_CYCLE_1)
	s_and_saveexec_b32 s4, s18
	s_cbranch_execz .LBB7_19
; %bb.18:                               ;   in Loop: Header=BB7_4 Depth=1
	v_min_i64 v[4:5], v[4:5], v[14:15]
	v_cmp_eq_f64_e32 vcc_lo, v[16:17], v[10:11]
	v_mov_b64_e32 v[22:23], v[16:17]
	v_dual_mov_b32 v10, v12 :: v_dual_mov_b32 v11, v13
	s_delay_alu instid0(VALU_DEP_4)
	v_dual_cndmask_b32 v4, v14, v4 :: v_dual_cndmask_b32 v5, v15, v5
.LBB7_19:                               ;   in Loop: Header=BB7_4 Depth=1
	s_or_b32 exec_lo, exec_lo, s4
	s_delay_alu instid0(VALU_DEP_1) | instskip(NEXT) | instid1(VALU_DEP_2)
	v_mov_b64_e32 v[14:15], v[4:5]
	v_mov_b64_e32 v[16:17], v[22:23]
	v_dual_mov_b32 v13, v11 :: v_dual_mov_b32 v12, v10
.LBB7_20:                               ;   in Loop: Header=BB7_4 Depth=1
	s_or_b32 exec_lo, exec_lo, s5
	ds_bpermute_b32 v4, v27, v14
	ds_bpermute_b32 v5, v27, v15
	s_wait_dscnt 0x3
	ds_bpermute_b32 v10, v27, v12
	s_wait_dscnt 0x3
	ds_bpermute_b32 v11, v27, v13
	s_mov_b32 s5, exec_lo
	s_wait_dscnt 0x2
	v_cmpx_ne_u64_e32 0, v[4:5]
	s_cbranch_execz .LBB7_24
; %bb.21:                               ;   in Loop: Header=BB7_4 Depth=1
	s_wait_dscnt 0x0
	v_cmp_nlt_f64_e32 vcc_lo, v[16:17], v[10:11]
	v_cmp_ne_u64_e64 s4, 0, v[14:15]
	v_mov_b64_e32 v[22:23], v[10:11]
	s_and_b32 s18, s4, vcc_lo
	s_delay_alu instid0(SALU_CYCLE_1)
	s_and_saveexec_b32 s4, s18
	s_cbranch_execz .LBB7_23
; %bb.22:                               ;   in Loop: Header=BB7_4 Depth=1
	v_min_i64 v[4:5], v[4:5], v[14:15]
	v_cmp_eq_f64_e32 vcc_lo, v[16:17], v[10:11]
	v_mov_b64_e32 v[22:23], v[16:17]
	v_dual_mov_b32 v10, v12 :: v_dual_mov_b32 v11, v13
	s_delay_alu instid0(VALU_DEP_4)
	v_dual_cndmask_b32 v4, v14, v4 :: v_dual_cndmask_b32 v5, v15, v5
.LBB7_23:                               ;   in Loop: Header=BB7_4 Depth=1
	s_or_b32 exec_lo, exec_lo, s4
	s_delay_alu instid0(VALU_DEP_1) | instskip(NEXT) | instid1(VALU_DEP_2)
	v_mov_b64_e32 v[14:15], v[4:5]
	v_mov_b64_e32 v[16:17], v[22:23]
	v_dual_mov_b32 v13, v11 :: v_dual_mov_b32 v12, v10
.LBB7_24:                               ;   in Loop: Header=BB7_4 Depth=1
	s_or_b32 exec_lo, exec_lo, s5
	s_wait_dscnt 0x1
	ds_bpermute_b32 v10, v28, v14
	s_wait_dscnt 0x1
	ds_bpermute_b32 v11, v28, v15
	ds_bpermute_b32 v4, v28, v12
	;; [unrolled: 1-line block ×3, first 2 shown]
	s_mov_b32 s18, exec_lo
	s_wait_dscnt 0x2
	v_cmpx_ne_u64_e32 0, v[10:11]
	s_cbranch_execz .LBB7_26
; %bb.25:                               ;   in Loop: Header=BB7_4 Depth=1
	v_min_i64 v[22:23], v[10:11], v[14:15]
	s_wait_dscnt 0x0
	v_mov_b32_e32 v5, v12
	v_cmp_eq_u64_e64 s5, 0, v[14:15]
	s_delay_alu instid0(VALU_DEP_2) | instskip(NEXT) | instid1(VALU_DEP_4)
	v_cmp_eq_f64_e32 vcc_lo, v[16:17], v[4:5]
	v_cndmask_b32_e32 v3, v14, v22, vcc_lo
	v_cmp_lt_f64_e64 s4, v[16:17], v[4:5]
	v_cndmask_b32_e32 v5, v15, v23, vcc_lo
	s_or_b32 vcc_lo, s5, s4
	v_dual_cndmask_b32 v14, v3, v10 :: v_dual_cndmask_b32 v17, v17, v12
	s_delay_alu instid0(VALU_DEP_2)
	v_dual_cndmask_b32 v15, v5, v11 :: v_dual_cndmask_b32 v16, v16, v4
.LBB7_26:                               ;   in Loop: Header=BB7_4 Depth=1
	s_or_b32 exec_lo, exec_lo, s18
	s_and_saveexec_b32 s4, s3
; %bb.27:                               ;   in Loop: Header=BB7_4 Depth=1
	ds_store_b128 v29, v[14:17]
; %bb.28:                               ;   in Loop: Header=BB7_4 Depth=1
	s_or_b32 exec_lo, exec_lo, s4
	s_wait_dscnt 0x0
	v_mov_b64_e32 v[12:13], 0
	v_mov_b64_e32 v[10:11], 0
	s_barrier_signal -1
	s_barrier_wait -1
	s_and_saveexec_b32 s4, s2
; %bb.29:                               ;   in Loop: Header=BB7_4 Depth=1
	ds_load_b128 v[10:13], v1
; %bb.30:                               ;   in Loop: Header=BB7_4 Depth=1
	s_or_b32 exec_lo, exec_lo, s4
	s_and_saveexec_b32 s18, s2
	s_cbranch_execz .LBB7_50
; %bb.31:                               ;   in Loop: Header=BB7_4 Depth=1
	s_wait_dscnt 0x0
	ds_bpermute_b32 v14, v24, v10
	ds_bpermute_b32 v15, v24, v11
	;; [unrolled: 1-line block ×4, first 2 shown]
	v_mov_b64_e32 v[4:5], v[12:13]
	s_mov_b32 s5, exec_lo
	s_wait_dscnt 0x2
	v_cmpx_ne_u64_e32 0, v[14:15]
	s_cbranch_execz .LBB7_35
; %bb.32:                               ;   in Loop: Header=BB7_4 Depth=1
	s_wait_dscnt 0x0
	v_cmp_nlt_f64_e32 vcc_lo, v[12:13], v[16:17]
	v_cmp_ne_u64_e64 s4, 0, v[10:11]
	v_mov_b64_e32 v[4:5], v[16:17]
	s_and_b32 s19, s4, vcc_lo
	s_delay_alu instid0(SALU_CYCLE_1)
	s_and_saveexec_b32 s4, s19
	s_cbranch_execz .LBB7_34
; %bb.33:                               ;   in Loop: Header=BB7_4 Depth=1
	v_min_i64 v[14:15], v[14:15], v[10:11]
	v_cmp_eq_f64_e32 vcc_lo, v[12:13], v[16:17]
	v_mov_b64_e32 v[4:5], v[12:13]
	v_dual_mov_b32 v16, v12 :: v_dual_mov_b32 v17, v13
	s_delay_alu instid0(VALU_DEP_4)
	v_dual_cndmask_b32 v14, v10, v14 :: v_dual_cndmask_b32 v15, v11, v15
.LBB7_34:                               ;   in Loop: Header=BB7_4 Depth=1
	s_or_b32 exec_lo, exec_lo, s4
	s_delay_alu instid0(VALU_DEP_1) | instskip(NEXT) | instid1(VALU_DEP_3)
	v_mov_b64_e32 v[10:11], v[14:15]
	v_dual_mov_b32 v13, v17 :: v_dual_mov_b32 v12, v16
.LBB7_35:                               ;   in Loop: Header=BB7_4 Depth=1
	s_or_b32 exec_lo, exec_lo, s5
	ds_bpermute_b32 v14, v25, v10
	ds_bpermute_b32 v15, v25, v11
	s_wait_dscnt 0x3
	ds_bpermute_b32 v16, v25, v12
	s_wait_dscnt 0x3
	ds_bpermute_b32 v17, v25, v13
	s_mov_b32 s5, exec_lo
	s_wait_dscnt 0x2
	v_cmpx_ne_u64_e32 0, v[14:15]
	s_cbranch_execz .LBB7_39
; %bb.36:                               ;   in Loop: Header=BB7_4 Depth=1
	s_wait_dscnt 0x0
	v_cmp_nlt_f64_e32 vcc_lo, v[4:5], v[16:17]
	v_cmp_ne_u64_e64 s4, 0, v[10:11]
	v_mov_b64_e32 v[22:23], v[16:17]
	s_and_b32 s19, s4, vcc_lo
	s_delay_alu instid0(SALU_CYCLE_1)
	s_and_saveexec_b32 s4, s19
	s_cbranch_execz .LBB7_38
; %bb.37:                               ;   in Loop: Header=BB7_4 Depth=1
	v_min_i64 v[14:15], v[14:15], v[10:11]
	v_cmp_eq_f64_e32 vcc_lo, v[4:5], v[16:17]
	v_mov_b64_e32 v[22:23], v[4:5]
	v_dual_mov_b32 v16, v12 :: v_dual_mov_b32 v17, v13
	s_delay_alu instid0(VALU_DEP_4)
	v_dual_cndmask_b32 v14, v10, v14 :: v_dual_cndmask_b32 v15, v11, v15
.LBB7_38:                               ;   in Loop: Header=BB7_4 Depth=1
	s_or_b32 exec_lo, exec_lo, s4
	s_delay_alu instid0(VALU_DEP_1) | instskip(NEXT) | instid1(VALU_DEP_2)
	v_mov_b64_e32 v[10:11], v[14:15]
	v_mov_b64_e32 v[4:5], v[22:23]
	v_dual_mov_b32 v13, v17 :: v_dual_mov_b32 v12, v16
.LBB7_39:                               ;   in Loop: Header=BB7_4 Depth=1
	s_or_b32 exec_lo, exec_lo, s5
	ds_bpermute_b32 v14, v26, v10
	ds_bpermute_b32 v15, v26, v11
	s_wait_dscnt 0x3
	ds_bpermute_b32 v16, v26, v12
	s_wait_dscnt 0x3
	ds_bpermute_b32 v17, v26, v13
	s_mov_b32 s5, exec_lo
	s_wait_dscnt 0x2
	v_cmpx_ne_u64_e32 0, v[14:15]
	s_cbranch_execz .LBB7_43
; %bb.40:                               ;   in Loop: Header=BB7_4 Depth=1
	s_wait_dscnt 0x0
	v_cmp_nlt_f64_e32 vcc_lo, v[4:5], v[16:17]
	v_cmp_ne_u64_e64 s4, 0, v[10:11]
	v_mov_b64_e32 v[22:23], v[16:17]
	s_and_b32 s19, s4, vcc_lo
	s_delay_alu instid0(SALU_CYCLE_1)
	s_and_saveexec_b32 s4, s19
	s_cbranch_execz .LBB7_42
; %bb.41:                               ;   in Loop: Header=BB7_4 Depth=1
	v_min_i64 v[14:15], v[14:15], v[10:11]
	v_cmp_eq_f64_e32 vcc_lo, v[4:5], v[16:17]
	v_mov_b64_e32 v[22:23], v[4:5]
	v_dual_mov_b32 v16, v12 :: v_dual_mov_b32 v17, v13
	s_delay_alu instid0(VALU_DEP_4)
	v_dual_cndmask_b32 v14, v10, v14 :: v_dual_cndmask_b32 v15, v11, v15
.LBB7_42:                               ;   in Loop: Header=BB7_4 Depth=1
	s_or_b32 exec_lo, exec_lo, s4
	s_delay_alu instid0(VALU_DEP_1) | instskip(NEXT) | instid1(VALU_DEP_2)
	v_mov_b64_e32 v[10:11], v[14:15]
	v_mov_b64_e32 v[4:5], v[22:23]
	v_dual_mov_b32 v13, v17 :: v_dual_mov_b32 v12, v16
.LBB7_43:                               ;   in Loop: Header=BB7_4 Depth=1
	;; [unrolled: 34-line block ×3, first 2 shown]
	s_or_b32 exec_lo, exec_lo, s5
	ds_bpermute_b32 v14, v28, v10
	ds_bpermute_b32 v15, v28, v11
	;; [unrolled: 1-line block ×3, first 2 shown]
	s_wait_dscnt 0x4
	ds_bpermute_b32 v16, v28, v13
	s_mov_b32 s19, exec_lo
	s_wait_dscnt 0x2
	v_cmpx_ne_u64_e32 0, v[14:15]
	s_cbranch_execz .LBB7_49
; %bb.48:                               ;   in Loop: Header=BB7_4 Depth=1
	v_min_i64 v[22:23], v[14:15], v[10:11]
	s_wait_dscnt 0x0
	v_mov_b32_e32 v13, v16
	v_cmp_eq_u64_e64 s5, 0, v[10:11]
	s_delay_alu instid0(VALU_DEP_2) | instskip(NEXT) | instid1(VALU_DEP_4)
	v_cmp_eq_f64_e32 vcc_lo, v[4:5], v[12:13]
	v_cndmask_b32_e32 v3, v10, v22, vcc_lo
	v_cmp_lt_f64_e64 s4, v[4:5], v[12:13]
	v_cndmask_b32_e32 v10, v11, v23, vcc_lo
	s_or_b32 vcc_lo, s5, s4
	s_delay_alu instid0(VALU_DEP_1) | instid1(SALU_CYCLE_1)
	v_dual_cndmask_b32 v5, v5, v16, vcc_lo :: v_dual_cndmask_b32 v11, v10, v15, vcc_lo
	v_dual_cndmask_b32 v10, v3, v14, vcc_lo :: v_dual_cndmask_b32 v4, v4, v12, vcc_lo
.LBB7_49:                               ;   in Loop: Header=BB7_4 Depth=1
	s_or_b32 exec_lo, exec_lo, s19
	s_wait_dscnt 0x1
	s_delay_alu instid0(VALU_DEP_1)
	v_mov_b64_e32 v[12:13], v[4:5]
.LBB7_50:                               ;   in Loop: Header=BB7_4 Depth=1
	s_or_b32 exec_lo, exec_lo, s18
	s_wait_dscnt 0x0
	v_cmp_ne_u64_e32 vcc_lo, 0, v[10:11]
	s_and_b32 s4, s17, vcc_lo
	s_delay_alu instid0(SALU_CYCLE_1)
	s_and_saveexec_b32 s5, s4
	s_cbranch_execz .LBB7_3
; %bb.51:                               ;   in Loop: Header=BB7_4 Depth=1
	v_cmp_ngt_f64_e32 vcc_lo, v[12:13], v[8:9]
	v_cmp_ne_u64_e64 s4, 0, v[6:7]
	v_mov_b64_e32 v[4:5], v[12:13]
	s_and_b32 s18, s4, vcc_lo
	s_delay_alu instid0(SALU_CYCLE_1)
	s_and_saveexec_b32 s4, s18
	s_cbranch_execz .LBB7_2
; %bb.52:                               ;   in Loop: Header=BB7_4 Depth=1
	v_min_i64 v[4:5], v[10:11], v[6:7]
	v_cmp_eq_f64_e32 vcc_lo, v[8:9], v[12:13]
	s_delay_alu instid0(VALU_DEP_2)
	v_dual_cndmask_b32 v11, v7, v5 :: v_dual_cndmask_b32 v10, v6, v4
	v_mov_b64_e32 v[4:5], v[8:9]
	s_branch .LBB7_2
.LBB7_53:
	v_mov_b64_e32 v[6:7], 0
.LBB7_54:
	s_mov_b32 s3, 0
	s_mov_b32 s2, exec_lo
	v_cmpx_eq_u32_e32 0, v0
	s_cbranch_execz .LBB7_56
; %bb.55:
	s_load_b96 s[8:10], s[0:1], 0x28
	v_mov_b32_e32 v0, s16
	s_wait_kmcnt 0x0
	s_mov_b32 s2, s10
	s_delay_alu instid0(SALU_CYCLE_1) | instskip(NEXT) | instid1(SALU_CYCLE_1)
	s_mul_u64 s[0:1], s[2:3], s[6:7]
	s_lshl_b64 s[0:1], s[0:1], 4
	s_delay_alu instid0(SALU_CYCLE_1)
	s_add_nc_u64 s[0:1], s[8:9], s[0:1]
	global_store_b128 v0, v[6:9], s[0:1] scale_offset
.LBB7_56:
	s_endpgm
	.section	.rodata,"a",@progbits
	.p2align	6, 0x0
	.amdhsa_kernel _ZL35rocblas_iamax_iamin_kernel_part1_64ILi1024E26rocblas_fetch_amax_amin_64IdE22rocblas_reduce_amax_64PKPKd24rocblas_index_64_value_tIdEEvlT2_lllPT3_
		.amdhsa_group_segment_fixed_size 512
		.amdhsa_private_segment_fixed_size 0
		.amdhsa_kernarg_size 304
		.amdhsa_user_sgpr_count 2
		.amdhsa_user_sgpr_dispatch_ptr 0
		.amdhsa_user_sgpr_queue_ptr 0
		.amdhsa_user_sgpr_kernarg_segment_ptr 1
		.amdhsa_user_sgpr_dispatch_id 0
		.amdhsa_user_sgpr_kernarg_preload_length 0
		.amdhsa_user_sgpr_kernarg_preload_offset 0
		.amdhsa_user_sgpr_private_segment_size 0
		.amdhsa_wavefront_size32 1
		.amdhsa_uses_dynamic_stack 0
		.amdhsa_enable_private_segment 0
		.amdhsa_system_sgpr_workgroup_id_x 1
		.amdhsa_system_sgpr_workgroup_id_y 0
		.amdhsa_system_sgpr_workgroup_id_z 1
		.amdhsa_system_sgpr_workgroup_info 0
		.amdhsa_system_vgpr_workitem_id 0
		.amdhsa_next_free_vgpr 30
		.amdhsa_next_free_sgpr 20
		.amdhsa_named_barrier_count 0
		.amdhsa_reserve_vcc 1
		.amdhsa_float_round_mode_32 0
		.amdhsa_float_round_mode_16_64 0
		.amdhsa_float_denorm_mode_32 3
		.amdhsa_float_denorm_mode_16_64 3
		.amdhsa_fp16_overflow 0
		.amdhsa_memory_ordered 1
		.amdhsa_forward_progress 1
		.amdhsa_inst_pref_size 18
		.amdhsa_round_robin_scheduling 0
		.amdhsa_exception_fp_ieee_invalid_op 0
		.amdhsa_exception_fp_denorm_src 0
		.amdhsa_exception_fp_ieee_div_zero 0
		.amdhsa_exception_fp_ieee_overflow 0
		.amdhsa_exception_fp_ieee_underflow 0
		.amdhsa_exception_fp_ieee_inexact 0
		.amdhsa_exception_int_div_zero 0
	.end_amdhsa_kernel
	.section	.text._ZL35rocblas_iamax_iamin_kernel_part1_64ILi1024E26rocblas_fetch_amax_amin_64IdE22rocblas_reduce_amax_64PKPKd24rocblas_index_64_value_tIdEEvlT2_lllPT3_,"axG",@progbits,_ZL35rocblas_iamax_iamin_kernel_part1_64ILi1024E26rocblas_fetch_amax_amin_64IdE22rocblas_reduce_amax_64PKPKd24rocblas_index_64_value_tIdEEvlT2_lllPT3_,comdat
.Lfunc_end7:
	.size	_ZL35rocblas_iamax_iamin_kernel_part1_64ILi1024E26rocblas_fetch_amax_amin_64IdE22rocblas_reduce_amax_64PKPKd24rocblas_index_64_value_tIdEEvlT2_lllPT3_, .Lfunc_end7-_ZL35rocblas_iamax_iamin_kernel_part1_64ILi1024E26rocblas_fetch_amax_amin_64IdE22rocblas_reduce_amax_64PKPKd24rocblas_index_64_value_tIdEEvlT2_lllPT3_
                                        ; -- End function
	.set _ZL35rocblas_iamax_iamin_kernel_part1_64ILi1024E26rocblas_fetch_amax_amin_64IdE22rocblas_reduce_amax_64PKPKd24rocblas_index_64_value_tIdEEvlT2_lllPT3_.num_vgpr, 30
	.set _ZL35rocblas_iamax_iamin_kernel_part1_64ILi1024E26rocblas_fetch_amax_amin_64IdE22rocblas_reduce_amax_64PKPKd24rocblas_index_64_value_tIdEEvlT2_lllPT3_.num_agpr, 0
	.set _ZL35rocblas_iamax_iamin_kernel_part1_64ILi1024E26rocblas_fetch_amax_amin_64IdE22rocblas_reduce_amax_64PKPKd24rocblas_index_64_value_tIdEEvlT2_lllPT3_.numbered_sgpr, 20
	.set _ZL35rocblas_iamax_iamin_kernel_part1_64ILi1024E26rocblas_fetch_amax_amin_64IdE22rocblas_reduce_amax_64PKPKd24rocblas_index_64_value_tIdEEvlT2_lllPT3_.num_named_barrier, 0
	.set _ZL35rocblas_iamax_iamin_kernel_part1_64ILi1024E26rocblas_fetch_amax_amin_64IdE22rocblas_reduce_amax_64PKPKd24rocblas_index_64_value_tIdEEvlT2_lllPT3_.private_seg_size, 0
	.set _ZL35rocblas_iamax_iamin_kernel_part1_64ILi1024E26rocblas_fetch_amax_amin_64IdE22rocblas_reduce_amax_64PKPKd24rocblas_index_64_value_tIdEEvlT2_lllPT3_.uses_vcc, 1
	.set _ZL35rocblas_iamax_iamin_kernel_part1_64ILi1024E26rocblas_fetch_amax_amin_64IdE22rocblas_reduce_amax_64PKPKd24rocblas_index_64_value_tIdEEvlT2_lllPT3_.uses_flat_scratch, 0
	.set _ZL35rocblas_iamax_iamin_kernel_part1_64ILi1024E26rocblas_fetch_amax_amin_64IdE22rocblas_reduce_amax_64PKPKd24rocblas_index_64_value_tIdEEvlT2_lllPT3_.has_dyn_sized_stack, 0
	.set _ZL35rocblas_iamax_iamin_kernel_part1_64ILi1024E26rocblas_fetch_amax_amin_64IdE22rocblas_reduce_amax_64PKPKd24rocblas_index_64_value_tIdEEvlT2_lllPT3_.has_recursion, 0
	.set _ZL35rocblas_iamax_iamin_kernel_part1_64ILi1024E26rocblas_fetch_amax_amin_64IdE22rocblas_reduce_amax_64PKPKd24rocblas_index_64_value_tIdEEvlT2_lllPT3_.has_indirect_call, 0
	.section	.AMDGPU.csdata,"",@progbits
; Kernel info:
; codeLenInByte = 2232
; TotalNumSgprs: 22
; NumVgprs: 30
; ScratchSize: 0
; MemoryBound: 0
; FloatMode: 240
; IeeeMode: 1
; LDSByteSize: 512 bytes/workgroup (compile time only)
; SGPRBlocks: 0
; VGPRBlocks: 1
; NumSGPRsForWavesPerEU: 22
; NumVGPRsForWavesPerEU: 30
; NamedBarCnt: 0
; Occupancy: 16
; WaveLimiterHint : 0
; COMPUTE_PGM_RSRC2:SCRATCH_EN: 0
; COMPUTE_PGM_RSRC2:USER_SGPR: 2
; COMPUTE_PGM_RSRC2:TRAP_HANDLER: 0
; COMPUTE_PGM_RSRC2:TGID_X_EN: 1
; COMPUTE_PGM_RSRC2:TGID_Y_EN: 0
; COMPUTE_PGM_RSRC2:TGID_Z_EN: 1
; COMPUTE_PGM_RSRC2:TIDIG_COMP_CNT: 0
	.section	.text._ZL35rocblas_iamax_iamin_kernel_part1_64ILi1024E26rocblas_fetch_amax_amin_64IfE22rocblas_reduce_amax_64PKPK19rocblas_complex_numIfE24rocblas_index_64_value_tIfEEvlT2_lllPT3_,"axG",@progbits,_ZL35rocblas_iamax_iamin_kernel_part1_64ILi1024E26rocblas_fetch_amax_amin_64IfE22rocblas_reduce_amax_64PKPK19rocblas_complex_numIfE24rocblas_index_64_value_tIfEEvlT2_lllPT3_,comdat
	.globl	_ZL35rocblas_iamax_iamin_kernel_part1_64ILi1024E26rocblas_fetch_amax_amin_64IfE22rocblas_reduce_amax_64PKPK19rocblas_complex_numIfE24rocblas_index_64_value_tIfEEvlT2_lllPT3_ ; -- Begin function _ZL35rocblas_iamax_iamin_kernel_part1_64ILi1024E26rocblas_fetch_amax_amin_64IfE22rocblas_reduce_amax_64PKPK19rocblas_complex_numIfE24rocblas_index_64_value_tIfEEvlT2_lllPT3_
	.p2align	8
	.type	_ZL35rocblas_iamax_iamin_kernel_part1_64ILi1024E26rocblas_fetch_amax_amin_64IfE22rocblas_reduce_amax_64PKPK19rocblas_complex_numIfE24rocblas_index_64_value_tIfEEvlT2_lllPT3_,@function
_ZL35rocblas_iamax_iamin_kernel_part1_64ILi1024E26rocblas_fetch_amax_amin_64IfE22rocblas_reduce_amax_64PKPK19rocblas_complex_numIfE24rocblas_index_64_value_tIfEEvlT2_lllPT3_: ; @_ZL35rocblas_iamax_iamin_kernel_part1_64ILi1024E26rocblas_fetch_amax_amin_64IfE22rocblas_reduce_amax_64PKPK19rocblas_complex_numIfE24rocblas_index_64_value_tIfEEvlT2_lllPT3_
; %bb.0:
	s_load_b256 s[8:15], s[0:1], 0x0
	s_bfe_u32 s2, ttmp6, 0x40014
	s_lshr_b32 s3, ttmp7, 16
	s_add_co_i32 s2, s2, 1
	s_bfe_u32 s5, ttmp6, 0x4000c
	s_mul_i32 s2, s3, s2
	s_bfe_u32 s4, ttmp6, 0x40008
	s_add_co_i32 s5, s5, 1
	s_add_co_i32 s4, s4, s2
	s_and_b32 s2, ttmp6, 15
	s_mul_i32 s5, ttmp9, s5
	s_getreg_b32 s6, hwreg(HW_REG_IB_STS2, 6, 4)
	s_add_co_i32 s2, s2, s5
	s_cmp_eq_u32 s6, 0
	s_mov_b32 s17, 0
	s_cselect_b32 s6, ttmp9, s2
	s_cselect_b32 s16, s3, s4
	s_wait_kmcnt 0x0
	v_cmp_lt_i64_e64 s7, s[8:9], 1
	s_and_b32 vcc_lo, exec_lo, s7
	s_cbranch_vccnz .LBB8_53
; %bb.1:
	v_lshl_or_b32 v6, s6, 10, v0
	v_dual_mov_b32 v7, 0 :: v_dual_bitop2_b32 v2, 31, v0 bitop3:0x40
	v_mbcnt_lo_u32_b32 v3, -1, 0
	s_load_b64 s[4:5], s[10:11], s16 offset:0x0 scale_offset
	s_load_b32 s7, s[0:1], 0x30
	s_delay_alu instid0(VALU_DEP_2)
	v_mul_u64_e32 v[10:11], s[14:15], v[6:7]
	v_lshlrev_b32_e32 v1, 4, v2
	v_cmp_gt_u32_e32 vcc_lo, 24, v3
	s_lshl_b64 s[12:13], s[12:13], 3
	v_lshl_or_b32 v5, v3, 2, 64
	v_cmp_eq_u32_e64 s3, 0, v2
	s_wait_xcnt 0x0
	s_mov_b32 s11, s17
	v_cndmask_b32_e64 v4, 0, 8, vcc_lo
	v_cmp_gt_u32_e32 vcc_lo, 28, v3
	v_cmp_gt_u32_e64 s2, 32, v0
                                        ; implicit-def: $vgpr21
	s_delay_alu instid0(VALU_DEP_3) | instskip(SKIP_3) | instid1(VALU_DEP_3)
	v_add_lshl_u32 v16, v4, v3, 2
	v_cndmask_b32_e64 v8, 0, 4, vcc_lo
	v_cmp_gt_u32_e32 vcc_lo, 30, v3
	v_lshrrev_b32_e32 v4, 1, v0
	v_add_lshl_u32 v17, v8, v3, 2
	v_cndmask_b32_e64 v9, 0, 2, vcc_lo
	v_cmp_ne_u32_e32 vcc_lo, 31, v3
	s_delay_alu instid0(VALU_DEP_4)
	v_and_b32_e32 v20, 0x1f0, v4
	s_wait_kmcnt 0x0
	s_add_nc_u64 s[4:5], s[4:5], s[12:13]
	s_lshl_b32 s10, s7, 10
	v_add_lshl_u32 v18, v9, v3, 2
	v_add_co_ci_u32_e64 v12, null, 0, v3, vcc_lo
	v_cmp_ne_u32_e32 vcc_lo, 0, v0
	v_mov_b64_e32 v[8:9], 0
	v_mov_b64_e32 v[2:3], 0
	s_delay_alu instid0(VALU_DEP_4)
	v_lshlrev_b32_e32 v19, 2, v12
	s_mul_u64 s[12:13], s[14:15], s[10:11]
	v_lshl_add_u64 v[10:11], v[10:11], 3, s[4:5]
	s_lshl_b64 s[12:13], s[12:13], 3
	s_mov_b64 s[14:15], 0
	s_xor_b32 s7, vcc_lo, -1
	s_branch .LBB8_4
.LBB8_2:                                ;   in Loop: Header=BB8_4 Depth=1
	s_or_b32 exec_lo, exec_lo, s4
	s_delay_alu instid0(VALU_DEP_1)
	v_mov_b64_e32 v[2:3], v[12:13]
	v_mov_b32_e32 v4, v14
.LBB8_3:                                ;   in Loop: Header=BB8_4 Depth=1
	s_or_b32 exec_lo, exec_lo, s5
	s_add_nc_u64 s[14:15], s[14:15], s[10:11]
	v_add_nc_u64_e32 v[10:11], s[12:13], v[10:11]
	v_cmp_ge_i64_e64 s4, s[14:15], s[8:9]
	s_and_b32 vcc_lo, exec_lo, s4
	s_cbranch_vccnz .LBB8_54
.LBB8_4:                                ; =>This Inner Loop Header: Depth=1
	v_add_nc_u64_e32 v[14:15], s[14:15], v[6:7]
	v_mov_b64_e32 v[12:13], 0
	s_mov_b32 s4, exec_lo
	s_delay_alu instid0(VALU_DEP_2)
	v_cmpx_gt_i64_e64 s[8:9], v[14:15]
	s_cbranch_execz .LBB8_6
; %bb.5:                                ;   in Loop: Header=BB8_4 Depth=1
	flat_load_b64 v[12:13], v[10:11]
	s_wait_loadcnt_dscnt 0x0
	v_cmp_gt_f32_e32 vcc_lo, 0, v13
	v_cndmask_b32_e64 v21, v13, -v13, vcc_lo
	v_cmp_gt_f32_e32 vcc_lo, 0, v12
	v_cndmask_b32_e64 v22, v12, -v12, vcc_lo
	v_add_nc_u64_e32 v[12:13], 1, v[14:15]
	s_delay_alu instid0(VALU_DEP_2)
	v_add_f32_e32 v21, v22, v21
.LBB8_6:                                ;   in Loop: Header=BB8_4 Depth=1
	s_wait_xcnt 0x0
	s_or_b32 exec_lo, exec_lo, s4
	s_and_saveexec_b32 s4, s2
	s_cbranch_execz .LBB8_8
; %bb.7:                                ;   in Loop: Header=BB8_4 Depth=1
	ds_store_b64 v1, v[8:9]
	ds_store_b32 v1, v7 offset:8
.LBB8_8:                                ;   in Loop: Header=BB8_4 Depth=1
	s_or_b32 exec_lo, exec_lo, s4
	ds_bpermute_b32 v14, v5, v12
	ds_bpermute_b32 v15, v5, v13
	s_wait_dscnt 0x2
	ds_bpermute_b32 v23, v5, v21
	v_mov_b32_e32 v22, v21
	s_mov_b32 s5, exec_lo
	s_wait_dscnt 0x0
	s_barrier_signal -1
	s_barrier_wait -1
	v_cmpx_ne_u64_e32 0, v[14:15]
	s_cbranch_execz .LBB8_12
; %bb.9:                                ;   in Loop: Header=BB8_4 Depth=1
	v_cmp_ne_u64_e32 vcc_lo, 0, v[12:13]
	v_cmp_nlt_f32_e64 s4, v21, v23
	s_and_b32 s18, vcc_lo, s4
	s_delay_alu instid0(SALU_CYCLE_1)
	s_and_saveexec_b32 s4, s18
	s_cbranch_execz .LBB8_11
; %bb.10:                               ;   in Loop: Header=BB8_4 Depth=1
	v_min_i64 v[14:15], v[14:15], v[12:13]
	v_cmp_eq_f32_e32 vcc_lo, v21, v23
	v_mov_b32_e32 v23, v21
	s_delay_alu instid0(VALU_DEP_3)
	v_dual_cndmask_b32 v15, v13, v15 :: v_dual_cndmask_b32 v14, v12, v14
.LBB8_11:                               ;   in Loop: Header=BB8_4 Depth=1
	s_or_b32 exec_lo, exec_lo, s4
	s_delay_alu instid0(VALU_DEP_1) | instskip(NEXT) | instid1(VALU_DEP_3)
	v_mov_b64_e32 v[12:13], v[14:15]
	v_dual_mov_b32 v21, v23 :: v_dual_mov_b32 v22, v23
.LBB8_12:                               ;   in Loop: Header=BB8_4 Depth=1
	s_or_b32 exec_lo, exec_lo, s5
	ds_bpermute_b32 v14, v16, v12
	ds_bpermute_b32 v15, v16, v13
	ds_bpermute_b32 v23, v16, v21
	s_mov_b32 s5, exec_lo
	s_wait_dscnt 0x1
	v_cmpx_ne_u64_e32 0, v[14:15]
	s_cbranch_execz .LBB8_16
; %bb.13:                               ;   in Loop: Header=BB8_4 Depth=1
	v_cmp_ne_u64_e32 vcc_lo, 0, v[12:13]
	s_wait_dscnt 0x0
	v_cmp_nlt_f32_e64 s4, v22, v23
	v_mov_b32_e32 v24, v23
	s_and_b32 s18, vcc_lo, s4
	s_delay_alu instid0(SALU_CYCLE_1)
	s_and_saveexec_b32 s4, s18
	s_cbranch_execz .LBB8_15
; %bb.14:                               ;   in Loop: Header=BB8_4 Depth=1
	v_min_i64 v[14:15], v[14:15], v[12:13]
	v_cmp_eq_f32_e32 vcc_lo, v22, v23
	v_dual_mov_b32 v24, v22 :: v_dual_mov_b32 v23, v21
	s_delay_alu instid0(VALU_DEP_3)
	v_dual_cndmask_b32 v14, v12, v14 :: v_dual_cndmask_b32 v15, v13, v15
.LBB8_15:                               ;   in Loop: Header=BB8_4 Depth=1
	s_or_b32 exec_lo, exec_lo, s4
	s_delay_alu instid0(VALU_DEP_1) | instskip(NEXT) | instid1(VALU_DEP_2)
	v_mov_b64_e32 v[12:13], v[14:15]
	v_dual_mov_b32 v21, v23 :: v_dual_mov_b32 v22, v24
.LBB8_16:                               ;   in Loop: Header=BB8_4 Depth=1
	s_or_b32 exec_lo, exec_lo, s5
	ds_bpermute_b32 v14, v17, v12
	ds_bpermute_b32 v15, v17, v13
	s_wait_dscnt 0x2
	ds_bpermute_b32 v23, v17, v21
	s_mov_b32 s5, exec_lo
	s_wait_dscnt 0x1
	v_cmpx_ne_u64_e32 0, v[14:15]
	s_cbranch_execz .LBB8_20
; %bb.17:                               ;   in Loop: Header=BB8_4 Depth=1
	v_cmp_ne_u64_e32 vcc_lo, 0, v[12:13]
	s_wait_dscnt 0x0
	v_cmp_nlt_f32_e64 s4, v22, v23
	v_mov_b32_e32 v24, v23
	s_and_b32 s18, vcc_lo, s4
	s_delay_alu instid0(SALU_CYCLE_1)
	s_and_saveexec_b32 s4, s18
	s_cbranch_execz .LBB8_19
; %bb.18:                               ;   in Loop: Header=BB8_4 Depth=1
	v_min_i64 v[14:15], v[14:15], v[12:13]
	v_cmp_eq_f32_e32 vcc_lo, v22, v23
	v_dual_mov_b32 v24, v22 :: v_dual_mov_b32 v23, v21
	s_delay_alu instid0(VALU_DEP_3)
	v_dual_cndmask_b32 v14, v12, v14 :: v_dual_cndmask_b32 v15, v13, v15
.LBB8_19:                               ;   in Loop: Header=BB8_4 Depth=1
	s_or_b32 exec_lo, exec_lo, s4
	s_delay_alu instid0(VALU_DEP_1) | instskip(NEXT) | instid1(VALU_DEP_2)
	v_mov_b64_e32 v[12:13], v[14:15]
	v_dual_mov_b32 v21, v23 :: v_dual_mov_b32 v22, v24
.LBB8_20:                               ;   in Loop: Header=BB8_4 Depth=1
	s_or_b32 exec_lo, exec_lo, s5
	ds_bpermute_b32 v14, v18, v12
	ds_bpermute_b32 v15, v18, v13
	s_wait_dscnt 0x2
	ds_bpermute_b32 v23, v18, v21
	s_mov_b32 s5, exec_lo
	s_wait_dscnt 0x1
	v_cmpx_ne_u64_e32 0, v[14:15]
	s_cbranch_execz .LBB8_24
; %bb.21:                               ;   in Loop: Header=BB8_4 Depth=1
	v_cmp_ne_u64_e32 vcc_lo, 0, v[12:13]
	s_wait_dscnt 0x0
	v_cmp_nlt_f32_e64 s4, v22, v23
	v_mov_b32_e32 v24, v23
	s_and_b32 s18, vcc_lo, s4
	s_delay_alu instid0(SALU_CYCLE_1)
	s_and_saveexec_b32 s4, s18
	s_cbranch_execz .LBB8_23
; %bb.22:                               ;   in Loop: Header=BB8_4 Depth=1
	v_min_i64 v[14:15], v[14:15], v[12:13]
	v_cmp_eq_f32_e32 vcc_lo, v22, v23
	v_dual_mov_b32 v24, v22 :: v_dual_mov_b32 v23, v21
	s_delay_alu instid0(VALU_DEP_3)
	v_dual_cndmask_b32 v14, v12, v14 :: v_dual_cndmask_b32 v15, v13, v15
.LBB8_23:                               ;   in Loop: Header=BB8_4 Depth=1
	s_or_b32 exec_lo, exec_lo, s4
	s_delay_alu instid0(VALU_DEP_1) | instskip(NEXT) | instid1(VALU_DEP_2)
	v_mov_b64_e32 v[12:13], v[14:15]
	v_dual_mov_b32 v21, v23 :: v_dual_mov_b32 v22, v24
.LBB8_24:                               ;   in Loop: Header=BB8_4 Depth=1
	s_or_b32 exec_lo, exec_lo, s5
	ds_bpermute_b32 v14, v19, v12
	ds_bpermute_b32 v15, v19, v13
	;; [unrolled: 1-line block ×3, first 2 shown]
	s_mov_b32 s18, exec_lo
	s_wait_dscnt 0x1
	v_cmpx_ne_u64_e32 0, v[14:15]
	s_cbranch_execz .LBB8_26
; %bb.25:                               ;   in Loop: Header=BB8_4 Depth=1
	v_min_i64 v[24:25], v[14:15], v[12:13]
	s_wait_dscnt 0x0
	v_cmp_eq_f32_e32 vcc_lo, v22, v21
	v_cmp_eq_u64_e64 s4, 0, v[12:13]
	v_cmp_lt_f32_e64 s5, v22, v21
	s_delay_alu instid0(VALU_DEP_4)
	v_dual_cndmask_b32 v12, v12, v24 :: v_dual_cndmask_b32 v13, v13, v25
	s_or_b32 vcc_lo, s4, s5
	s_delay_alu instid0(VALU_DEP_1) | instid1(SALU_CYCLE_1)
	v_dual_cndmask_b32 v22, v22, v21, vcc_lo :: v_dual_cndmask_b32 v12, v12, v14, vcc_lo
	s_delay_alu instid0(VALU_DEP_2)
	v_cndmask_b32_e32 v13, v13, v15, vcc_lo
.LBB8_26:                               ;   in Loop: Header=BB8_4 Depth=1
	s_or_b32 exec_lo, exec_lo, s18
	s_and_saveexec_b32 s4, s3
	s_cbranch_execz .LBB8_28
; %bb.27:                               ;   in Loop: Header=BB8_4 Depth=1
	ds_store_b64 v20, v[12:13]
	ds_store_b32 v20, v22 offset:8
.LBB8_28:                               ;   in Loop: Header=BB8_4 Depth=1
	s_or_b32 exec_lo, exec_lo, s4
	v_mov_b64_e32 v[12:13], 0
	s_wait_dscnt 0x0
	v_mov_b32_e32 v21, 0
	s_barrier_signal -1
	s_barrier_wait -1
	s_and_saveexec_b32 s4, s2
	s_cbranch_execz .LBB8_30
; %bb.29:                               ;   in Loop: Header=BB8_4 Depth=1
	ds_load_b64 v[12:13], v1
	ds_load_b32 v21, v1 offset:8
.LBB8_30:                               ;   in Loop: Header=BB8_4 Depth=1
	s_or_b32 exec_lo, exec_lo, s4
	s_and_saveexec_b32 s18, s2
	s_cbranch_execz .LBB8_50
; %bb.31:                               ;   in Loop: Header=BB8_4 Depth=1
	s_wait_dscnt 0x1
	ds_bpermute_b32 v14, v5, v12
	ds_bpermute_b32 v15, v5, v13
	s_wait_dscnt 0x2
	ds_bpermute_b32 v23, v5, v21
	v_mov_b32_e32 v22, v21
	s_mov_b32 s5, exec_lo
	s_wait_dscnt 0x1
	v_cmpx_ne_u64_e32 0, v[14:15]
	s_cbranch_execz .LBB8_35
; %bb.32:                               ;   in Loop: Header=BB8_4 Depth=1
	v_cmp_ne_u64_e32 vcc_lo, 0, v[12:13]
	s_wait_dscnt 0x0
	v_cmp_nlt_f32_e64 s4, v21, v23
	s_and_b32 s19, vcc_lo, s4
	s_delay_alu instid0(SALU_CYCLE_1)
	s_and_saveexec_b32 s4, s19
	s_cbranch_execz .LBB8_34
; %bb.33:                               ;   in Loop: Header=BB8_4 Depth=1
	v_min_i64 v[14:15], v[14:15], v[12:13]
	v_cmp_eq_f32_e32 vcc_lo, v21, v23
	v_mov_b32_e32 v23, v21
	s_delay_alu instid0(VALU_DEP_3)
	v_dual_cndmask_b32 v15, v13, v15 :: v_dual_cndmask_b32 v14, v12, v14
.LBB8_34:                               ;   in Loop: Header=BB8_4 Depth=1
	s_or_b32 exec_lo, exec_lo, s4
	s_delay_alu instid0(VALU_DEP_1) | instskip(NEXT) | instid1(VALU_DEP_3)
	v_mov_b64_e32 v[12:13], v[14:15]
	v_dual_mov_b32 v21, v23 :: v_dual_mov_b32 v22, v23
.LBB8_35:                               ;   in Loop: Header=BB8_4 Depth=1
	s_or_b32 exec_lo, exec_lo, s5
	ds_bpermute_b32 v14, v16, v12
	ds_bpermute_b32 v15, v16, v13
	s_wait_dscnt 0x2
	ds_bpermute_b32 v23, v16, v21
	s_mov_b32 s5, exec_lo
	s_wait_dscnt 0x1
	v_cmpx_ne_u64_e32 0, v[14:15]
	s_cbranch_execz .LBB8_39
; %bb.36:                               ;   in Loop: Header=BB8_4 Depth=1
	v_cmp_ne_u64_e32 vcc_lo, 0, v[12:13]
	s_wait_dscnt 0x0
	v_cmp_nlt_f32_e64 s4, v22, v23
	v_mov_b32_e32 v24, v23
	s_and_b32 s19, vcc_lo, s4
	s_delay_alu instid0(SALU_CYCLE_1)
	s_and_saveexec_b32 s4, s19
	s_cbranch_execz .LBB8_38
; %bb.37:                               ;   in Loop: Header=BB8_4 Depth=1
	v_min_i64 v[14:15], v[14:15], v[12:13]
	v_cmp_eq_f32_e32 vcc_lo, v22, v23
	v_dual_mov_b32 v24, v22 :: v_dual_mov_b32 v23, v21
	s_delay_alu instid0(VALU_DEP_3)
	v_dual_cndmask_b32 v14, v12, v14 :: v_dual_cndmask_b32 v15, v13, v15
.LBB8_38:                               ;   in Loop: Header=BB8_4 Depth=1
	s_or_b32 exec_lo, exec_lo, s4
	s_delay_alu instid0(VALU_DEP_1) | instskip(NEXT) | instid1(VALU_DEP_2)
	v_mov_b64_e32 v[12:13], v[14:15]
	v_dual_mov_b32 v21, v23 :: v_dual_mov_b32 v22, v24
.LBB8_39:                               ;   in Loop: Header=BB8_4 Depth=1
	s_or_b32 exec_lo, exec_lo, s5
	ds_bpermute_b32 v14, v17, v12
	ds_bpermute_b32 v15, v17, v13
	s_wait_dscnt 0x2
	ds_bpermute_b32 v23, v17, v21
	s_mov_b32 s5, exec_lo
	s_wait_dscnt 0x1
	v_cmpx_ne_u64_e32 0, v[14:15]
	s_cbranch_execz .LBB8_43
; %bb.40:                               ;   in Loop: Header=BB8_4 Depth=1
	v_cmp_ne_u64_e32 vcc_lo, 0, v[12:13]
	s_wait_dscnt 0x0
	v_cmp_nlt_f32_e64 s4, v22, v23
	v_mov_b32_e32 v24, v23
	s_and_b32 s19, vcc_lo, s4
	s_delay_alu instid0(SALU_CYCLE_1)
	s_and_saveexec_b32 s4, s19
	s_cbranch_execz .LBB8_42
; %bb.41:                               ;   in Loop: Header=BB8_4 Depth=1
	v_min_i64 v[14:15], v[14:15], v[12:13]
	v_cmp_eq_f32_e32 vcc_lo, v22, v23
	v_dual_mov_b32 v24, v22 :: v_dual_mov_b32 v23, v21
	s_delay_alu instid0(VALU_DEP_3)
	v_dual_cndmask_b32 v14, v12, v14 :: v_dual_cndmask_b32 v15, v13, v15
.LBB8_42:                               ;   in Loop: Header=BB8_4 Depth=1
	s_or_b32 exec_lo, exec_lo, s4
	s_delay_alu instid0(VALU_DEP_1) | instskip(NEXT) | instid1(VALU_DEP_2)
	v_mov_b64_e32 v[12:13], v[14:15]
	v_dual_mov_b32 v21, v23 :: v_dual_mov_b32 v22, v24
.LBB8_43:                               ;   in Loop: Header=BB8_4 Depth=1
	;; [unrolled: 30-line block ×3, first 2 shown]
	s_or_b32 exec_lo, exec_lo, s5
	ds_bpermute_b32 v14, v19, v12
	ds_bpermute_b32 v15, v19, v13
	;; [unrolled: 1-line block ×3, first 2 shown]
	s_mov_b32 s19, exec_lo
	s_wait_dscnt 0x1
	v_cmpx_ne_u64_e32 0, v[14:15]
	s_cbranch_execz .LBB8_49
; %bb.48:                               ;   in Loop: Header=BB8_4 Depth=1
	v_min_i64 v[24:25], v[14:15], v[12:13]
	s_wait_dscnt 0x0
	v_cmp_eq_f32_e32 vcc_lo, v22, v21
	v_cmp_eq_u64_e64 s4, 0, v[12:13]
	v_cmp_lt_f32_e64 s5, v22, v21
	s_delay_alu instid0(VALU_DEP_4)
	v_dual_cndmask_b32 v12, v12, v24 :: v_dual_cndmask_b32 v13, v13, v25
	s_or_b32 vcc_lo, s4, s5
	s_delay_alu instid0(VALU_DEP_1) | instid1(SALU_CYCLE_1)
	v_dual_cndmask_b32 v22, v22, v21, vcc_lo :: v_dual_cndmask_b32 v12, v12, v14, vcc_lo
	s_delay_alu instid0(VALU_DEP_2)
	v_cndmask_b32_e32 v13, v13, v15, vcc_lo
.LBB8_49:                               ;   in Loop: Header=BB8_4 Depth=1
	s_or_b32 exec_lo, exec_lo, s19
	s_wait_dscnt 0x0
	s_delay_alu instid0(VALU_DEP_2)
	v_mov_b32_e32 v21, v22
.LBB8_50:                               ;   in Loop: Header=BB8_4 Depth=1
	s_or_b32 exec_lo, exec_lo, s18
	s_wait_dscnt 0x1
	v_cmp_ne_u64_e32 vcc_lo, 0, v[12:13]
	s_and_b32 s4, s7, vcc_lo
	s_delay_alu instid0(SALU_CYCLE_1)
	s_and_saveexec_b32 s5, s4
	s_cbranch_execz .LBB8_3
; %bb.51:                               ;   in Loop: Header=BB8_4 Depth=1
	v_cmp_ne_u64_e32 vcc_lo, 0, v[2:3]
	s_wait_dscnt 0x0
	v_cmp_ngt_f32_e64 s4, v21, v4
	v_mov_b32_e32 v14, v21
	s_and_b32 s18, vcc_lo, s4
	s_delay_alu instid0(SALU_CYCLE_1)
	s_and_saveexec_b32 s4, s18
	s_cbranch_execz .LBB8_2
; %bb.52:                               ;   in Loop: Header=BB8_4 Depth=1
	v_min_i64 v[12:13], v[12:13], v[2:3]
	v_cmp_eq_f32_e32 vcc_lo, v4, v21
	s_delay_alu instid0(VALU_DEP_2) | instskip(NEXT) | instid1(VALU_DEP_3)
	v_dual_mov_b32 v14, v4 :: v_dual_cndmask_b32 v13, v3, v13
	v_cndmask_b32_e32 v12, v2, v12, vcc_lo
	s_branch .LBB8_2
.LBB8_53:
	v_mov_b64_e32 v[2:3], 0
.LBB8_54:
	s_mov_b32 s3, 0
	s_mov_b32 s2, exec_lo
	v_cmpx_eq_u32_e32 0, v0
	s_cbranch_execz .LBB8_56
; %bb.55:
	s_load_b96 s[8:10], s[0:1], 0x28
	s_mov_b32 s7, s3
	v_mov_b32_e32 v0, 0
	s_wait_kmcnt 0x0
	s_mov_b32 s2, s10
	s_delay_alu instid0(SALU_CYCLE_1) | instskip(SKIP_2) | instid1(SALU_CYCLE_1)
	s_mul_u64 s[0:1], s[2:3], s[16:17]
	s_lshl_b64 s[2:3], s[6:7], 4
	s_lshl_b64 s[0:1], s[0:1], 4
	s_add_nc_u64 s[0:1], s[8:9], s[0:1]
	s_delay_alu instid0(SALU_CYCLE_1)
	s_add_nc_u64 s[0:1], s[0:1], s[2:3]
	global_store_b96 v0, v[2:4], s[0:1]
.LBB8_56:
	s_endpgm
	.section	.rodata,"a",@progbits
	.p2align	6, 0x0
	.amdhsa_kernel _ZL35rocblas_iamax_iamin_kernel_part1_64ILi1024E26rocblas_fetch_amax_amin_64IfE22rocblas_reduce_amax_64PKPK19rocblas_complex_numIfE24rocblas_index_64_value_tIfEEvlT2_lllPT3_
		.amdhsa_group_segment_fixed_size 512
		.amdhsa_private_segment_fixed_size 0
		.amdhsa_kernarg_size 304
		.amdhsa_user_sgpr_count 2
		.amdhsa_user_sgpr_dispatch_ptr 0
		.amdhsa_user_sgpr_queue_ptr 0
		.amdhsa_user_sgpr_kernarg_segment_ptr 1
		.amdhsa_user_sgpr_dispatch_id 0
		.amdhsa_user_sgpr_kernarg_preload_length 0
		.amdhsa_user_sgpr_kernarg_preload_offset 0
		.amdhsa_user_sgpr_private_segment_size 0
		.amdhsa_wavefront_size32 1
		.amdhsa_uses_dynamic_stack 0
		.amdhsa_enable_private_segment 0
		.amdhsa_system_sgpr_workgroup_id_x 1
		.amdhsa_system_sgpr_workgroup_id_y 0
		.amdhsa_system_sgpr_workgroup_id_z 1
		.amdhsa_system_sgpr_workgroup_info 0
		.amdhsa_system_vgpr_workitem_id 0
		.amdhsa_next_free_vgpr 26
		.amdhsa_next_free_sgpr 20
		.amdhsa_named_barrier_count 0
		.amdhsa_reserve_vcc 1
		.amdhsa_float_round_mode_32 0
		.amdhsa_float_round_mode_16_64 0
		.amdhsa_float_denorm_mode_32 3
		.amdhsa_float_denorm_mode_16_64 3
		.amdhsa_fp16_overflow 0
		.amdhsa_memory_ordered 1
		.amdhsa_forward_progress 1
		.amdhsa_inst_pref_size 17
		.amdhsa_round_robin_scheduling 0
		.amdhsa_exception_fp_ieee_invalid_op 0
		.amdhsa_exception_fp_denorm_src 0
		.amdhsa_exception_fp_ieee_div_zero 0
		.amdhsa_exception_fp_ieee_overflow 0
		.amdhsa_exception_fp_ieee_underflow 0
		.amdhsa_exception_fp_ieee_inexact 0
		.amdhsa_exception_int_div_zero 0
	.end_amdhsa_kernel
	.section	.text._ZL35rocblas_iamax_iamin_kernel_part1_64ILi1024E26rocblas_fetch_amax_amin_64IfE22rocblas_reduce_amax_64PKPK19rocblas_complex_numIfE24rocblas_index_64_value_tIfEEvlT2_lllPT3_,"axG",@progbits,_ZL35rocblas_iamax_iamin_kernel_part1_64ILi1024E26rocblas_fetch_amax_amin_64IfE22rocblas_reduce_amax_64PKPK19rocblas_complex_numIfE24rocblas_index_64_value_tIfEEvlT2_lllPT3_,comdat
.Lfunc_end8:
	.size	_ZL35rocblas_iamax_iamin_kernel_part1_64ILi1024E26rocblas_fetch_amax_amin_64IfE22rocblas_reduce_amax_64PKPK19rocblas_complex_numIfE24rocblas_index_64_value_tIfEEvlT2_lllPT3_, .Lfunc_end8-_ZL35rocblas_iamax_iamin_kernel_part1_64ILi1024E26rocblas_fetch_amax_amin_64IfE22rocblas_reduce_amax_64PKPK19rocblas_complex_numIfE24rocblas_index_64_value_tIfEEvlT2_lllPT3_
                                        ; -- End function
	.set _ZL35rocblas_iamax_iamin_kernel_part1_64ILi1024E26rocblas_fetch_amax_amin_64IfE22rocblas_reduce_amax_64PKPK19rocblas_complex_numIfE24rocblas_index_64_value_tIfEEvlT2_lllPT3_.num_vgpr, 26
	.set _ZL35rocblas_iamax_iamin_kernel_part1_64ILi1024E26rocblas_fetch_amax_amin_64IfE22rocblas_reduce_amax_64PKPK19rocblas_complex_numIfE24rocblas_index_64_value_tIfEEvlT2_lllPT3_.num_agpr, 0
	.set _ZL35rocblas_iamax_iamin_kernel_part1_64ILi1024E26rocblas_fetch_amax_amin_64IfE22rocblas_reduce_amax_64PKPK19rocblas_complex_numIfE24rocblas_index_64_value_tIfEEvlT2_lllPT3_.numbered_sgpr, 20
	.set _ZL35rocblas_iamax_iamin_kernel_part1_64ILi1024E26rocblas_fetch_amax_amin_64IfE22rocblas_reduce_amax_64PKPK19rocblas_complex_numIfE24rocblas_index_64_value_tIfEEvlT2_lllPT3_.num_named_barrier, 0
	.set _ZL35rocblas_iamax_iamin_kernel_part1_64ILi1024E26rocblas_fetch_amax_amin_64IfE22rocblas_reduce_amax_64PKPK19rocblas_complex_numIfE24rocblas_index_64_value_tIfEEvlT2_lllPT3_.private_seg_size, 0
	.set _ZL35rocblas_iamax_iamin_kernel_part1_64ILi1024E26rocblas_fetch_amax_amin_64IfE22rocblas_reduce_amax_64PKPK19rocblas_complex_numIfE24rocblas_index_64_value_tIfEEvlT2_lllPT3_.uses_vcc, 1
	.set _ZL35rocblas_iamax_iamin_kernel_part1_64ILi1024E26rocblas_fetch_amax_amin_64IfE22rocblas_reduce_amax_64PKPK19rocblas_complex_numIfE24rocblas_index_64_value_tIfEEvlT2_lllPT3_.uses_flat_scratch, 0
	.set _ZL35rocblas_iamax_iamin_kernel_part1_64ILi1024E26rocblas_fetch_amax_amin_64IfE22rocblas_reduce_amax_64PKPK19rocblas_complex_numIfE24rocblas_index_64_value_tIfEEvlT2_lllPT3_.has_dyn_sized_stack, 0
	.set _ZL35rocblas_iamax_iamin_kernel_part1_64ILi1024E26rocblas_fetch_amax_amin_64IfE22rocblas_reduce_amax_64PKPK19rocblas_complex_numIfE24rocblas_index_64_value_tIfEEvlT2_lllPT3_.has_recursion, 0
	.set _ZL35rocblas_iamax_iamin_kernel_part1_64ILi1024E26rocblas_fetch_amax_amin_64IfE22rocblas_reduce_amax_64PKPK19rocblas_complex_numIfE24rocblas_index_64_value_tIfEEvlT2_lllPT3_.has_indirect_call, 0
	.section	.AMDGPU.csdata,"",@progbits
; Kernel info:
; codeLenInByte = 2104
; TotalNumSgprs: 22
; NumVgprs: 26
; ScratchSize: 0
; MemoryBound: 0
; FloatMode: 240
; IeeeMode: 1
; LDSByteSize: 512 bytes/workgroup (compile time only)
; SGPRBlocks: 0
; VGPRBlocks: 1
; NumSGPRsForWavesPerEU: 22
; NumVGPRsForWavesPerEU: 26
; NamedBarCnt: 0
; Occupancy: 16
; WaveLimiterHint : 0
; COMPUTE_PGM_RSRC2:SCRATCH_EN: 0
; COMPUTE_PGM_RSRC2:USER_SGPR: 2
; COMPUTE_PGM_RSRC2:TRAP_HANDLER: 0
; COMPUTE_PGM_RSRC2:TGID_X_EN: 1
; COMPUTE_PGM_RSRC2:TGID_Y_EN: 0
; COMPUTE_PGM_RSRC2:TGID_Z_EN: 1
; COMPUTE_PGM_RSRC2:TIDIG_COMP_CNT: 0
	.section	.text._ZL35rocblas_iamax_iamin_kernel_part1_64ILi1024E26rocblas_fetch_amax_amin_64IdE22rocblas_reduce_amax_64PKPK19rocblas_complex_numIdE24rocblas_index_64_value_tIdEEvlT2_lllPT3_,"axG",@progbits,_ZL35rocblas_iamax_iamin_kernel_part1_64ILi1024E26rocblas_fetch_amax_amin_64IdE22rocblas_reduce_amax_64PKPK19rocblas_complex_numIdE24rocblas_index_64_value_tIdEEvlT2_lllPT3_,comdat
	.globl	_ZL35rocblas_iamax_iamin_kernel_part1_64ILi1024E26rocblas_fetch_amax_amin_64IdE22rocblas_reduce_amax_64PKPK19rocblas_complex_numIdE24rocblas_index_64_value_tIdEEvlT2_lllPT3_ ; -- Begin function _ZL35rocblas_iamax_iamin_kernel_part1_64ILi1024E26rocblas_fetch_amax_amin_64IdE22rocblas_reduce_amax_64PKPK19rocblas_complex_numIdE24rocblas_index_64_value_tIdEEvlT2_lllPT3_
	.p2align	8
	.type	_ZL35rocblas_iamax_iamin_kernel_part1_64ILi1024E26rocblas_fetch_amax_amin_64IdE22rocblas_reduce_amax_64PKPK19rocblas_complex_numIdE24rocblas_index_64_value_tIdEEvlT2_lllPT3_,@function
_ZL35rocblas_iamax_iamin_kernel_part1_64ILi1024E26rocblas_fetch_amax_amin_64IdE22rocblas_reduce_amax_64PKPK19rocblas_complex_numIdE24rocblas_index_64_value_tIdEEvlT2_lllPT3_: ; @_ZL35rocblas_iamax_iamin_kernel_part1_64ILi1024E26rocblas_fetch_amax_amin_64IdE22rocblas_reduce_amax_64PKPK19rocblas_complex_numIdE24rocblas_index_64_value_tIdEEvlT2_lllPT3_
; %bb.0:
	s_load_b256 s[8:15], s[0:1], 0x0
	s_bfe_u32 s2, ttmp6, 0x40014
	s_lshr_b32 s3, ttmp7, 16
	s_add_co_i32 s2, s2, 1
	s_bfe_u32 s5, ttmp6, 0x4000c
	s_mul_i32 s2, s3, s2
	s_bfe_u32 s4, ttmp6, 0x40008
	s_add_co_i32 s5, s5, 1
	s_add_co_i32 s4, s4, s2
	s_and_b32 s2, ttmp6, 15
	s_mul_i32 s5, ttmp9, s5
	s_getreg_b32 s6, hwreg(HW_REG_IB_STS2, 6, 4)
	s_add_co_i32 s2, s2, s5
	s_cmp_eq_u32 s6, 0
	s_cselect_b32 s16, ttmp9, s2
	s_cselect_b32 s6, s3, s4
	s_wait_kmcnt 0x0
	v_cmp_lt_i64_e64 s7, s[8:9], 1
	s_and_b32 vcc_lo, exec_lo, s7
	s_mov_b32 s7, 0
	s_cbranch_vccnz .LBB9_53
; %bb.1:
	v_dual_mov_b32 v2, 0 :: v_dual_bitop2_b32 v3, 31, v0 bitop3:0x40
	v_lshl_or_b32 v18, s16, 10, v0
	v_mbcnt_lo_u32_b32 v6, -1, 0
	s_load_b64 s[4:5], s[10:11], s6 offset:0x0 scale_offset
	s_delay_alu instid0(VALU_DEP_3)
	v_dual_mov_b32 v19, v2 :: v_dual_lshrrev_b32 v8, 1, v0
	s_wait_xcnt 0x0
	s_load_b32 s10, s[0:1], 0x30
	v_cmp_gt_u32_e64 s3, 24, v6
	s_lshl_b64 s[12:13], s[12:13], 4
	v_mul_u64_e32 v[4:5], s[14:15], v[18:19]
	v_cmp_ne_u32_e32 vcc_lo, 0, v0
	v_lshl_or_b32 v24, v6, 2, 64
	v_cndmask_b32_e64 v7, 0, 8, s3
	v_cmp_gt_u32_e64 s3, 28, v6
	s_mov_b32 s11, s7
	v_cmp_gt_u32_e64 s2, 32, v0
	v_lshlrev_b32_e32 v1, 4, v3
	v_add_lshl_u32 v25, v7, v6, 2
	v_cndmask_b32_e64 v9, 0, 4, s3
	v_cmp_gt_u32_e64 s3, 30, v6
	v_and_b32_e32 v29, 0x1f0, v8
	s_xor_b32 s17, vcc_lo, -1
                                        ; implicit-def: $vgpr12_vgpr13
	s_wait_kmcnt 0x0
	s_add_nc_u64 s[4:5], s[4:5], s[12:13]
	v_cndmask_b32_e64 v10, 0, 2, s3
	v_cmp_ne_u32_e64 s3, 31, v6
	v_add_lshl_u32 v26, v9, v6, 2
	s_lshl_b32 s10, s10, 10
	v_add_lshl_u32 v27, v10, v6, 2
	v_add_co_ci_u32_e64 v11, null, 0, v6, s3
	v_mov_b64_e32 v[6:7], 0
	v_cmp_eq_u32_e64 s3, 0, v3
	s_delay_alu instid0(VALU_DEP_3) | instskip(SKIP_4) | instid1(VALU_DEP_1)
	v_lshlrev_b32_e32 v28, 2, v11
	v_lshl_add_u64 v[4:5], v[4:5], 4, s[4:5]
	s_mul_u64 s[4:5], s[14:15], s[10:11]
	s_mov_b64 s[14:15], 0
	s_lshl_b64 s[12:13], s[4:5], 4
	v_add_nc_u64_e32 v[20:21], 8, v[4:5]
	s_branch .LBB9_4
.LBB9_2:                                ;   in Loop: Header=BB9_4 Depth=1
	s_or_b32 exec_lo, exec_lo, s4
	s_delay_alu instid0(VALU_DEP_2) | instskip(NEXT) | instid1(VALU_DEP_2)
	v_mov_b64_e32 v[6:7], v[10:11]
	v_mov_b64_e32 v[8:9], v[4:5]
.LBB9_3:                                ;   in Loop: Header=BB9_4 Depth=1
	s_or_b32 exec_lo, exec_lo, s5
	s_add_nc_u64 s[14:15], s[14:15], s[10:11]
	v_add_nc_u64_e32 v[20:21], s[12:13], v[20:21]
	v_cmp_ge_i64_e64 s4, s[14:15], s[8:9]
	s_and_b32 vcc_lo, exec_lo, s4
	s_cbranch_vccnz .LBB9_54
.LBB9_4:                                ; =>This Inner Loop Header: Depth=1
	v_add_nc_u64_e32 v[4:5], s[14:15], v[18:19]
	v_mov_b64_e32 v[14:15], 0
	s_mov_b32 s4, exec_lo
	s_delay_alu instid0(VALU_DEP_2)
	v_cmpx_gt_i64_e64 s[8:9], v[4:5]
	s_cbranch_execz .LBB9_6
; %bb.5:                                ;   in Loop: Header=BB9_4 Depth=1
	flat_load_b128 v[10:13], v[20:21] offset:-8
	s_wait_loadcnt_dscnt 0x0
	v_cmp_gt_f64_e32 vcc_lo, 0, v[10:11]
	v_xor_b32_e32 v3, 0x80000000, v11
	v_xor_b32_e32 v14, 0x80000000, v13
	s_delay_alu instid0(VALU_DEP_2) | instskip(SKIP_1) | instid1(VALU_DEP_3)
	v_cndmask_b32_e32 v11, v11, v3, vcc_lo
	v_cmp_gt_f64_e32 vcc_lo, 0, v[12:13]
	v_cndmask_b32_e32 v13, v13, v14, vcc_lo
	v_add_nc_u64_e32 v[14:15], 1, v[4:5]
	s_delay_alu instid0(VALU_DEP_2)
	v_add_f64_e32 v[12:13], v[10:11], v[12:13]
.LBB9_6:                                ;   in Loop: Header=BB9_4 Depth=1
	s_or_b32 exec_lo, exec_lo, s4
	s_and_saveexec_b32 s4, s2
; %bb.7:                                ;   in Loop: Header=BB9_4 Depth=1
	v_dual_mov_b32 v3, v2 :: v_dual_mov_b32 v4, v2
	v_mov_b32_e32 v5, v2
	ds_store_b128 v1, v[2:5]
; %bb.8:                                ;   in Loop: Header=BB9_4 Depth=1
	s_or_b32 exec_lo, exec_lo, s4
	ds_bpermute_b32 v4, v24, v14
	ds_bpermute_b32 v5, v24, v15
	;; [unrolled: 1-line block ×4, first 2 shown]
	v_mov_b64_e32 v[16:17], v[12:13]
	s_mov_b32 s5, exec_lo
	s_wait_dscnt 0x0
	s_barrier_signal -1
	s_barrier_wait -1
	v_cmpx_ne_u64_e32 0, v[4:5]
	s_cbranch_execz .LBB9_12
; %bb.9:                                ;   in Loop: Header=BB9_4 Depth=1
	v_cmp_nlt_f64_e32 vcc_lo, v[12:13], v[10:11]
	v_cmp_ne_u64_e64 s4, 0, v[14:15]
	v_mov_b64_e32 v[16:17], v[10:11]
	s_and_b32 s18, s4, vcc_lo
	s_delay_alu instid0(SALU_CYCLE_1)
	s_and_saveexec_b32 s4, s18
	s_cbranch_execz .LBB9_11
; %bb.10:                               ;   in Loop: Header=BB9_4 Depth=1
	v_min_i64 v[4:5], v[4:5], v[14:15]
	v_cmp_eq_f64_e32 vcc_lo, v[12:13], v[10:11]
	v_mov_b64_e32 v[16:17], v[12:13]
	v_dual_mov_b32 v10, v12 :: v_dual_mov_b32 v11, v13
	s_delay_alu instid0(VALU_DEP_4)
	v_dual_cndmask_b32 v4, v14, v4 :: v_dual_cndmask_b32 v5, v15, v5
.LBB9_11:                               ;   in Loop: Header=BB9_4 Depth=1
	s_or_b32 exec_lo, exec_lo, s4
	s_delay_alu instid0(VALU_DEP_1) | instskip(NEXT) | instid1(VALU_DEP_3)
	v_mov_b64_e32 v[14:15], v[4:5]
	v_dual_mov_b32 v13, v11 :: v_dual_mov_b32 v12, v10
.LBB9_12:                               ;   in Loop: Header=BB9_4 Depth=1
	s_or_b32 exec_lo, exec_lo, s5
	ds_bpermute_b32 v4, v25, v14
	ds_bpermute_b32 v5, v25, v15
	;; [unrolled: 1-line block ×4, first 2 shown]
	s_mov_b32 s5, exec_lo
	s_wait_dscnt 0x2
	v_cmpx_ne_u64_e32 0, v[4:5]
	s_cbranch_execz .LBB9_16
; %bb.13:                               ;   in Loop: Header=BB9_4 Depth=1
	s_wait_dscnt 0x0
	v_cmp_nlt_f64_e32 vcc_lo, v[16:17], v[10:11]
	v_cmp_ne_u64_e64 s4, 0, v[14:15]
	v_mov_b64_e32 v[22:23], v[10:11]
	s_and_b32 s18, s4, vcc_lo
	s_delay_alu instid0(SALU_CYCLE_1)
	s_and_saveexec_b32 s4, s18
	s_cbranch_execz .LBB9_15
; %bb.14:                               ;   in Loop: Header=BB9_4 Depth=1
	v_min_i64 v[4:5], v[4:5], v[14:15]
	v_cmp_eq_f64_e32 vcc_lo, v[16:17], v[10:11]
	v_mov_b64_e32 v[22:23], v[16:17]
	v_dual_mov_b32 v10, v12 :: v_dual_mov_b32 v11, v13
	s_delay_alu instid0(VALU_DEP_4)
	v_dual_cndmask_b32 v4, v14, v4 :: v_dual_cndmask_b32 v5, v15, v5
.LBB9_15:                               ;   in Loop: Header=BB9_4 Depth=1
	s_or_b32 exec_lo, exec_lo, s4
	s_delay_alu instid0(VALU_DEP_1) | instskip(NEXT) | instid1(VALU_DEP_2)
	v_mov_b64_e32 v[14:15], v[4:5]
	v_mov_b64_e32 v[16:17], v[22:23]
	v_dual_mov_b32 v13, v11 :: v_dual_mov_b32 v12, v10
.LBB9_16:                               ;   in Loop: Header=BB9_4 Depth=1
	s_or_b32 exec_lo, exec_lo, s5
	ds_bpermute_b32 v4, v26, v14
	ds_bpermute_b32 v5, v26, v15
	s_wait_dscnt 0x3
	ds_bpermute_b32 v10, v26, v12
	s_wait_dscnt 0x3
	ds_bpermute_b32 v11, v26, v13
	s_mov_b32 s5, exec_lo
	s_wait_dscnt 0x2
	v_cmpx_ne_u64_e32 0, v[4:5]
	s_cbranch_execz .LBB9_20
; %bb.17:                               ;   in Loop: Header=BB9_4 Depth=1
	s_wait_dscnt 0x0
	v_cmp_nlt_f64_e32 vcc_lo, v[16:17], v[10:11]
	v_cmp_ne_u64_e64 s4, 0, v[14:15]
	v_mov_b64_e32 v[22:23], v[10:11]
	s_and_b32 s18, s4, vcc_lo
	s_delay_alu instid0(SALU_CYCLE_1)
	s_and_saveexec_b32 s4, s18
	s_cbranch_execz .LBB9_19
; %bb.18:                               ;   in Loop: Header=BB9_4 Depth=1
	v_min_i64 v[4:5], v[4:5], v[14:15]
	v_cmp_eq_f64_e32 vcc_lo, v[16:17], v[10:11]
	v_mov_b64_e32 v[22:23], v[16:17]
	v_dual_mov_b32 v10, v12 :: v_dual_mov_b32 v11, v13
	s_delay_alu instid0(VALU_DEP_4)
	v_dual_cndmask_b32 v4, v14, v4 :: v_dual_cndmask_b32 v5, v15, v5
.LBB9_19:                               ;   in Loop: Header=BB9_4 Depth=1
	s_or_b32 exec_lo, exec_lo, s4
	s_delay_alu instid0(VALU_DEP_1) | instskip(NEXT) | instid1(VALU_DEP_2)
	v_mov_b64_e32 v[14:15], v[4:5]
	v_mov_b64_e32 v[16:17], v[22:23]
	v_dual_mov_b32 v13, v11 :: v_dual_mov_b32 v12, v10
.LBB9_20:                               ;   in Loop: Header=BB9_4 Depth=1
	s_or_b32 exec_lo, exec_lo, s5
	ds_bpermute_b32 v4, v27, v14
	ds_bpermute_b32 v5, v27, v15
	s_wait_dscnt 0x3
	ds_bpermute_b32 v10, v27, v12
	s_wait_dscnt 0x3
	ds_bpermute_b32 v11, v27, v13
	s_mov_b32 s5, exec_lo
	s_wait_dscnt 0x2
	v_cmpx_ne_u64_e32 0, v[4:5]
	s_cbranch_execz .LBB9_24
; %bb.21:                               ;   in Loop: Header=BB9_4 Depth=1
	s_wait_dscnt 0x0
	v_cmp_nlt_f64_e32 vcc_lo, v[16:17], v[10:11]
	v_cmp_ne_u64_e64 s4, 0, v[14:15]
	v_mov_b64_e32 v[22:23], v[10:11]
	s_and_b32 s18, s4, vcc_lo
	s_delay_alu instid0(SALU_CYCLE_1)
	s_and_saveexec_b32 s4, s18
	s_cbranch_execz .LBB9_23
; %bb.22:                               ;   in Loop: Header=BB9_4 Depth=1
	v_min_i64 v[4:5], v[4:5], v[14:15]
	v_cmp_eq_f64_e32 vcc_lo, v[16:17], v[10:11]
	v_mov_b64_e32 v[22:23], v[16:17]
	v_dual_mov_b32 v10, v12 :: v_dual_mov_b32 v11, v13
	s_delay_alu instid0(VALU_DEP_4)
	v_dual_cndmask_b32 v4, v14, v4 :: v_dual_cndmask_b32 v5, v15, v5
.LBB9_23:                               ;   in Loop: Header=BB9_4 Depth=1
	s_or_b32 exec_lo, exec_lo, s4
	s_delay_alu instid0(VALU_DEP_1) | instskip(NEXT) | instid1(VALU_DEP_2)
	v_mov_b64_e32 v[14:15], v[4:5]
	v_mov_b64_e32 v[16:17], v[22:23]
	v_dual_mov_b32 v13, v11 :: v_dual_mov_b32 v12, v10
.LBB9_24:                               ;   in Loop: Header=BB9_4 Depth=1
	s_or_b32 exec_lo, exec_lo, s5
	s_wait_dscnt 0x1
	ds_bpermute_b32 v10, v28, v14
	s_wait_dscnt 0x1
	ds_bpermute_b32 v11, v28, v15
	ds_bpermute_b32 v4, v28, v12
	;; [unrolled: 1-line block ×3, first 2 shown]
	s_mov_b32 s18, exec_lo
	s_wait_dscnt 0x2
	v_cmpx_ne_u64_e32 0, v[10:11]
	s_cbranch_execz .LBB9_26
; %bb.25:                               ;   in Loop: Header=BB9_4 Depth=1
	v_min_i64 v[22:23], v[10:11], v[14:15]
	s_wait_dscnt 0x0
	v_mov_b32_e32 v5, v12
	v_cmp_eq_u64_e64 s5, 0, v[14:15]
	s_delay_alu instid0(VALU_DEP_2) | instskip(NEXT) | instid1(VALU_DEP_4)
	v_cmp_eq_f64_e32 vcc_lo, v[16:17], v[4:5]
	v_cndmask_b32_e32 v3, v14, v22, vcc_lo
	v_cmp_lt_f64_e64 s4, v[16:17], v[4:5]
	v_cndmask_b32_e32 v5, v15, v23, vcc_lo
	s_or_b32 vcc_lo, s5, s4
	v_dual_cndmask_b32 v14, v3, v10 :: v_dual_cndmask_b32 v17, v17, v12
	s_delay_alu instid0(VALU_DEP_2)
	v_dual_cndmask_b32 v15, v5, v11 :: v_dual_cndmask_b32 v16, v16, v4
.LBB9_26:                               ;   in Loop: Header=BB9_4 Depth=1
	s_or_b32 exec_lo, exec_lo, s18
	s_and_saveexec_b32 s4, s3
; %bb.27:                               ;   in Loop: Header=BB9_4 Depth=1
	ds_store_b128 v29, v[14:17]
; %bb.28:                               ;   in Loop: Header=BB9_4 Depth=1
	s_or_b32 exec_lo, exec_lo, s4
	s_wait_dscnt 0x0
	v_mov_b64_e32 v[12:13], 0
	v_mov_b64_e32 v[10:11], 0
	s_barrier_signal -1
	s_barrier_wait -1
	s_and_saveexec_b32 s4, s2
; %bb.29:                               ;   in Loop: Header=BB9_4 Depth=1
	ds_load_b128 v[10:13], v1
; %bb.30:                               ;   in Loop: Header=BB9_4 Depth=1
	s_or_b32 exec_lo, exec_lo, s4
	s_and_saveexec_b32 s18, s2
	s_cbranch_execz .LBB9_50
; %bb.31:                               ;   in Loop: Header=BB9_4 Depth=1
	s_wait_dscnt 0x0
	ds_bpermute_b32 v14, v24, v10
	ds_bpermute_b32 v15, v24, v11
	;; [unrolled: 1-line block ×4, first 2 shown]
	v_mov_b64_e32 v[4:5], v[12:13]
	s_mov_b32 s5, exec_lo
	s_wait_dscnt 0x2
	v_cmpx_ne_u64_e32 0, v[14:15]
	s_cbranch_execz .LBB9_35
; %bb.32:                               ;   in Loop: Header=BB9_4 Depth=1
	s_wait_dscnt 0x0
	v_cmp_nlt_f64_e32 vcc_lo, v[12:13], v[16:17]
	v_cmp_ne_u64_e64 s4, 0, v[10:11]
	v_mov_b64_e32 v[4:5], v[16:17]
	s_and_b32 s19, s4, vcc_lo
	s_delay_alu instid0(SALU_CYCLE_1)
	s_and_saveexec_b32 s4, s19
	s_cbranch_execz .LBB9_34
; %bb.33:                               ;   in Loop: Header=BB9_4 Depth=1
	v_min_i64 v[14:15], v[14:15], v[10:11]
	v_cmp_eq_f64_e32 vcc_lo, v[12:13], v[16:17]
	v_mov_b64_e32 v[4:5], v[12:13]
	v_dual_mov_b32 v16, v12 :: v_dual_mov_b32 v17, v13
	s_delay_alu instid0(VALU_DEP_4)
	v_dual_cndmask_b32 v14, v10, v14 :: v_dual_cndmask_b32 v15, v11, v15
.LBB9_34:                               ;   in Loop: Header=BB9_4 Depth=1
	s_or_b32 exec_lo, exec_lo, s4
	s_delay_alu instid0(VALU_DEP_1) | instskip(NEXT) | instid1(VALU_DEP_3)
	v_mov_b64_e32 v[10:11], v[14:15]
	v_dual_mov_b32 v13, v17 :: v_dual_mov_b32 v12, v16
.LBB9_35:                               ;   in Loop: Header=BB9_4 Depth=1
	s_or_b32 exec_lo, exec_lo, s5
	ds_bpermute_b32 v14, v25, v10
	ds_bpermute_b32 v15, v25, v11
	s_wait_dscnt 0x3
	ds_bpermute_b32 v16, v25, v12
	s_wait_dscnt 0x3
	ds_bpermute_b32 v17, v25, v13
	s_mov_b32 s5, exec_lo
	s_wait_dscnt 0x2
	v_cmpx_ne_u64_e32 0, v[14:15]
	s_cbranch_execz .LBB9_39
; %bb.36:                               ;   in Loop: Header=BB9_4 Depth=1
	s_wait_dscnt 0x0
	v_cmp_nlt_f64_e32 vcc_lo, v[4:5], v[16:17]
	v_cmp_ne_u64_e64 s4, 0, v[10:11]
	v_mov_b64_e32 v[22:23], v[16:17]
	s_and_b32 s19, s4, vcc_lo
	s_delay_alu instid0(SALU_CYCLE_1)
	s_and_saveexec_b32 s4, s19
	s_cbranch_execz .LBB9_38
; %bb.37:                               ;   in Loop: Header=BB9_4 Depth=1
	v_min_i64 v[14:15], v[14:15], v[10:11]
	v_cmp_eq_f64_e32 vcc_lo, v[4:5], v[16:17]
	v_mov_b64_e32 v[22:23], v[4:5]
	v_dual_mov_b32 v16, v12 :: v_dual_mov_b32 v17, v13
	s_delay_alu instid0(VALU_DEP_4)
	v_dual_cndmask_b32 v14, v10, v14 :: v_dual_cndmask_b32 v15, v11, v15
.LBB9_38:                               ;   in Loop: Header=BB9_4 Depth=1
	s_or_b32 exec_lo, exec_lo, s4
	s_delay_alu instid0(VALU_DEP_1) | instskip(NEXT) | instid1(VALU_DEP_2)
	v_mov_b64_e32 v[10:11], v[14:15]
	v_mov_b64_e32 v[4:5], v[22:23]
	v_dual_mov_b32 v13, v17 :: v_dual_mov_b32 v12, v16
.LBB9_39:                               ;   in Loop: Header=BB9_4 Depth=1
	s_or_b32 exec_lo, exec_lo, s5
	ds_bpermute_b32 v14, v26, v10
	ds_bpermute_b32 v15, v26, v11
	s_wait_dscnt 0x3
	ds_bpermute_b32 v16, v26, v12
	s_wait_dscnt 0x3
	ds_bpermute_b32 v17, v26, v13
	s_mov_b32 s5, exec_lo
	s_wait_dscnt 0x2
	v_cmpx_ne_u64_e32 0, v[14:15]
	s_cbranch_execz .LBB9_43
; %bb.40:                               ;   in Loop: Header=BB9_4 Depth=1
	s_wait_dscnt 0x0
	v_cmp_nlt_f64_e32 vcc_lo, v[4:5], v[16:17]
	v_cmp_ne_u64_e64 s4, 0, v[10:11]
	v_mov_b64_e32 v[22:23], v[16:17]
	s_and_b32 s19, s4, vcc_lo
	s_delay_alu instid0(SALU_CYCLE_1)
	s_and_saveexec_b32 s4, s19
	s_cbranch_execz .LBB9_42
; %bb.41:                               ;   in Loop: Header=BB9_4 Depth=1
	v_min_i64 v[14:15], v[14:15], v[10:11]
	v_cmp_eq_f64_e32 vcc_lo, v[4:5], v[16:17]
	v_mov_b64_e32 v[22:23], v[4:5]
	v_dual_mov_b32 v16, v12 :: v_dual_mov_b32 v17, v13
	s_delay_alu instid0(VALU_DEP_4)
	v_dual_cndmask_b32 v14, v10, v14 :: v_dual_cndmask_b32 v15, v11, v15
.LBB9_42:                               ;   in Loop: Header=BB9_4 Depth=1
	s_or_b32 exec_lo, exec_lo, s4
	s_delay_alu instid0(VALU_DEP_1) | instskip(NEXT) | instid1(VALU_DEP_2)
	v_mov_b64_e32 v[10:11], v[14:15]
	v_mov_b64_e32 v[4:5], v[22:23]
	v_dual_mov_b32 v13, v17 :: v_dual_mov_b32 v12, v16
.LBB9_43:                               ;   in Loop: Header=BB9_4 Depth=1
	;; [unrolled: 34-line block ×3, first 2 shown]
	s_or_b32 exec_lo, exec_lo, s5
	ds_bpermute_b32 v14, v28, v10
	ds_bpermute_b32 v15, v28, v11
	;; [unrolled: 1-line block ×3, first 2 shown]
	s_wait_dscnt 0x4
	ds_bpermute_b32 v16, v28, v13
	s_mov_b32 s19, exec_lo
	s_wait_dscnt 0x2
	v_cmpx_ne_u64_e32 0, v[14:15]
	s_cbranch_execz .LBB9_49
; %bb.48:                               ;   in Loop: Header=BB9_4 Depth=1
	v_min_i64 v[22:23], v[14:15], v[10:11]
	s_wait_dscnt 0x0
	v_mov_b32_e32 v13, v16
	v_cmp_eq_u64_e64 s5, 0, v[10:11]
	s_delay_alu instid0(VALU_DEP_2) | instskip(NEXT) | instid1(VALU_DEP_4)
	v_cmp_eq_f64_e32 vcc_lo, v[4:5], v[12:13]
	v_cndmask_b32_e32 v3, v10, v22, vcc_lo
	v_cmp_lt_f64_e64 s4, v[4:5], v[12:13]
	v_cndmask_b32_e32 v10, v11, v23, vcc_lo
	s_or_b32 vcc_lo, s5, s4
	s_delay_alu instid0(VALU_DEP_1) | instid1(SALU_CYCLE_1)
	v_dual_cndmask_b32 v5, v5, v16, vcc_lo :: v_dual_cndmask_b32 v11, v10, v15, vcc_lo
	v_dual_cndmask_b32 v10, v3, v14, vcc_lo :: v_dual_cndmask_b32 v4, v4, v12, vcc_lo
.LBB9_49:                               ;   in Loop: Header=BB9_4 Depth=1
	s_or_b32 exec_lo, exec_lo, s19
	s_wait_dscnt 0x1
	s_delay_alu instid0(VALU_DEP_1)
	v_mov_b64_e32 v[12:13], v[4:5]
.LBB9_50:                               ;   in Loop: Header=BB9_4 Depth=1
	s_or_b32 exec_lo, exec_lo, s18
	s_wait_dscnt 0x0
	v_cmp_ne_u64_e32 vcc_lo, 0, v[10:11]
	s_and_b32 s4, s17, vcc_lo
	s_delay_alu instid0(SALU_CYCLE_1)
	s_and_saveexec_b32 s5, s4
	s_cbranch_execz .LBB9_3
; %bb.51:                               ;   in Loop: Header=BB9_4 Depth=1
	v_cmp_ngt_f64_e32 vcc_lo, v[12:13], v[8:9]
	v_cmp_ne_u64_e64 s4, 0, v[6:7]
	v_mov_b64_e32 v[4:5], v[12:13]
	s_and_b32 s18, s4, vcc_lo
	s_delay_alu instid0(SALU_CYCLE_1)
	s_and_saveexec_b32 s4, s18
	s_cbranch_execz .LBB9_2
; %bb.52:                               ;   in Loop: Header=BB9_4 Depth=1
	v_min_i64 v[4:5], v[10:11], v[6:7]
	v_cmp_eq_f64_e32 vcc_lo, v[8:9], v[12:13]
	s_delay_alu instid0(VALU_DEP_2)
	v_dual_cndmask_b32 v11, v7, v5 :: v_dual_cndmask_b32 v10, v6, v4
	v_mov_b64_e32 v[4:5], v[8:9]
	s_branch .LBB9_2
.LBB9_53:
	v_mov_b64_e32 v[6:7], 0
.LBB9_54:
	s_mov_b32 s3, 0
	s_mov_b32 s2, exec_lo
	v_cmpx_eq_u32_e32 0, v0
	s_cbranch_execz .LBB9_56
; %bb.55:
	s_load_b96 s[8:10], s[0:1], 0x28
	v_mov_b32_e32 v0, s16
	s_wait_kmcnt 0x0
	s_mov_b32 s2, s10
	s_delay_alu instid0(SALU_CYCLE_1) | instskip(NEXT) | instid1(SALU_CYCLE_1)
	s_mul_u64 s[0:1], s[2:3], s[6:7]
	s_lshl_b64 s[0:1], s[0:1], 4
	s_delay_alu instid0(SALU_CYCLE_1)
	s_add_nc_u64 s[0:1], s[8:9], s[0:1]
	global_store_b128 v0, v[6:9], s[0:1] scale_offset
.LBB9_56:
	s_endpgm
	.section	.rodata,"a",@progbits
	.p2align	6, 0x0
	.amdhsa_kernel _ZL35rocblas_iamax_iamin_kernel_part1_64ILi1024E26rocblas_fetch_amax_amin_64IdE22rocblas_reduce_amax_64PKPK19rocblas_complex_numIdE24rocblas_index_64_value_tIdEEvlT2_lllPT3_
		.amdhsa_group_segment_fixed_size 512
		.amdhsa_private_segment_fixed_size 0
		.amdhsa_kernarg_size 304
		.amdhsa_user_sgpr_count 2
		.amdhsa_user_sgpr_dispatch_ptr 0
		.amdhsa_user_sgpr_queue_ptr 0
		.amdhsa_user_sgpr_kernarg_segment_ptr 1
		.amdhsa_user_sgpr_dispatch_id 0
		.amdhsa_user_sgpr_kernarg_preload_length 0
		.amdhsa_user_sgpr_kernarg_preload_offset 0
		.amdhsa_user_sgpr_private_segment_size 0
		.amdhsa_wavefront_size32 1
		.amdhsa_uses_dynamic_stack 0
		.amdhsa_enable_private_segment 0
		.amdhsa_system_sgpr_workgroup_id_x 1
		.amdhsa_system_sgpr_workgroup_id_y 0
		.amdhsa_system_sgpr_workgroup_id_z 1
		.amdhsa_system_sgpr_workgroup_info 0
		.amdhsa_system_vgpr_workitem_id 0
		.amdhsa_next_free_vgpr 30
		.amdhsa_next_free_sgpr 20
		.amdhsa_named_barrier_count 0
		.amdhsa_reserve_vcc 1
		.amdhsa_float_round_mode_32 0
		.amdhsa_float_round_mode_16_64 0
		.amdhsa_float_denorm_mode_32 3
		.amdhsa_float_denorm_mode_16_64 3
		.amdhsa_fp16_overflow 0
		.amdhsa_memory_ordered 1
		.amdhsa_forward_progress 1
		.amdhsa_inst_pref_size 18
		.amdhsa_round_robin_scheduling 0
		.amdhsa_exception_fp_ieee_invalid_op 0
		.amdhsa_exception_fp_denorm_src 0
		.amdhsa_exception_fp_ieee_div_zero 0
		.amdhsa_exception_fp_ieee_overflow 0
		.amdhsa_exception_fp_ieee_underflow 0
		.amdhsa_exception_fp_ieee_inexact 0
		.amdhsa_exception_int_div_zero 0
	.end_amdhsa_kernel
	.section	.text._ZL35rocblas_iamax_iamin_kernel_part1_64ILi1024E26rocblas_fetch_amax_amin_64IdE22rocblas_reduce_amax_64PKPK19rocblas_complex_numIdE24rocblas_index_64_value_tIdEEvlT2_lllPT3_,"axG",@progbits,_ZL35rocblas_iamax_iamin_kernel_part1_64ILi1024E26rocblas_fetch_amax_amin_64IdE22rocblas_reduce_amax_64PKPK19rocblas_complex_numIdE24rocblas_index_64_value_tIdEEvlT2_lllPT3_,comdat
.Lfunc_end9:
	.size	_ZL35rocblas_iamax_iamin_kernel_part1_64ILi1024E26rocblas_fetch_amax_amin_64IdE22rocblas_reduce_amax_64PKPK19rocblas_complex_numIdE24rocblas_index_64_value_tIdEEvlT2_lllPT3_, .Lfunc_end9-_ZL35rocblas_iamax_iamin_kernel_part1_64ILi1024E26rocblas_fetch_amax_amin_64IdE22rocblas_reduce_amax_64PKPK19rocblas_complex_numIdE24rocblas_index_64_value_tIdEEvlT2_lllPT3_
                                        ; -- End function
	.set _ZL35rocblas_iamax_iamin_kernel_part1_64ILi1024E26rocblas_fetch_amax_amin_64IdE22rocblas_reduce_amax_64PKPK19rocblas_complex_numIdE24rocblas_index_64_value_tIdEEvlT2_lllPT3_.num_vgpr, 30
	.set _ZL35rocblas_iamax_iamin_kernel_part1_64ILi1024E26rocblas_fetch_amax_amin_64IdE22rocblas_reduce_amax_64PKPK19rocblas_complex_numIdE24rocblas_index_64_value_tIdEEvlT2_lllPT3_.num_agpr, 0
	.set _ZL35rocblas_iamax_iamin_kernel_part1_64ILi1024E26rocblas_fetch_amax_amin_64IdE22rocblas_reduce_amax_64PKPK19rocblas_complex_numIdE24rocblas_index_64_value_tIdEEvlT2_lllPT3_.numbered_sgpr, 20
	.set _ZL35rocblas_iamax_iamin_kernel_part1_64ILi1024E26rocblas_fetch_amax_amin_64IdE22rocblas_reduce_amax_64PKPK19rocblas_complex_numIdE24rocblas_index_64_value_tIdEEvlT2_lllPT3_.num_named_barrier, 0
	.set _ZL35rocblas_iamax_iamin_kernel_part1_64ILi1024E26rocblas_fetch_amax_amin_64IdE22rocblas_reduce_amax_64PKPK19rocblas_complex_numIdE24rocblas_index_64_value_tIdEEvlT2_lllPT3_.private_seg_size, 0
	.set _ZL35rocblas_iamax_iamin_kernel_part1_64ILi1024E26rocblas_fetch_amax_amin_64IdE22rocblas_reduce_amax_64PKPK19rocblas_complex_numIdE24rocblas_index_64_value_tIdEEvlT2_lllPT3_.uses_vcc, 1
	.set _ZL35rocblas_iamax_iamin_kernel_part1_64ILi1024E26rocblas_fetch_amax_amin_64IdE22rocblas_reduce_amax_64PKPK19rocblas_complex_numIdE24rocblas_index_64_value_tIdEEvlT2_lllPT3_.uses_flat_scratch, 0
	.set _ZL35rocblas_iamax_iamin_kernel_part1_64ILi1024E26rocblas_fetch_amax_amin_64IdE22rocblas_reduce_amax_64PKPK19rocblas_complex_numIdE24rocblas_index_64_value_tIdEEvlT2_lllPT3_.has_dyn_sized_stack, 0
	.set _ZL35rocblas_iamax_iamin_kernel_part1_64ILi1024E26rocblas_fetch_amax_amin_64IdE22rocblas_reduce_amax_64PKPK19rocblas_complex_numIdE24rocblas_index_64_value_tIdEEvlT2_lllPT3_.has_recursion, 0
	.set _ZL35rocblas_iamax_iamin_kernel_part1_64ILi1024E26rocblas_fetch_amax_amin_64IdE22rocblas_reduce_amax_64PKPK19rocblas_complex_numIdE24rocblas_index_64_value_tIdEEvlT2_lllPT3_.has_indirect_call, 0
	.section	.AMDGPU.csdata,"",@progbits
; Kernel info:
; codeLenInByte = 2268
; TotalNumSgprs: 22
; NumVgprs: 30
; ScratchSize: 0
; MemoryBound: 0
; FloatMode: 240
; IeeeMode: 1
; LDSByteSize: 512 bytes/workgroup (compile time only)
; SGPRBlocks: 0
; VGPRBlocks: 1
; NumSGPRsForWavesPerEU: 22
; NumVGPRsForWavesPerEU: 30
; NamedBarCnt: 0
; Occupancy: 16
; WaveLimiterHint : 0
; COMPUTE_PGM_RSRC2:SCRATCH_EN: 0
; COMPUTE_PGM_RSRC2:USER_SGPR: 2
; COMPUTE_PGM_RSRC2:TRAP_HANDLER: 0
; COMPUTE_PGM_RSRC2:TGID_X_EN: 1
; COMPUTE_PGM_RSRC2:TGID_Y_EN: 0
; COMPUTE_PGM_RSRC2:TGID_Z_EN: 1
; COMPUTE_PGM_RSRC2:TIDIG_COMP_CNT: 0
	.section	.text._ZL35rocblas_iamax_iamin_kernel_part1_64ILi1024E26rocblas_fetch_amax_amin_64IfE22rocblas_reduce_amin_64PKf24rocblas_index_64_value_tIfEEvlT2_lllPT3_,"axG",@progbits,_ZL35rocblas_iamax_iamin_kernel_part1_64ILi1024E26rocblas_fetch_amax_amin_64IfE22rocblas_reduce_amin_64PKf24rocblas_index_64_value_tIfEEvlT2_lllPT3_,comdat
	.globl	_ZL35rocblas_iamax_iamin_kernel_part1_64ILi1024E26rocblas_fetch_amax_amin_64IfE22rocblas_reduce_amin_64PKf24rocblas_index_64_value_tIfEEvlT2_lllPT3_ ; -- Begin function _ZL35rocblas_iamax_iamin_kernel_part1_64ILi1024E26rocblas_fetch_amax_amin_64IfE22rocblas_reduce_amin_64PKf24rocblas_index_64_value_tIfEEvlT2_lllPT3_
	.p2align	8
	.type	_ZL35rocblas_iamax_iamin_kernel_part1_64ILi1024E26rocblas_fetch_amax_amin_64IfE22rocblas_reduce_amin_64PKf24rocblas_index_64_value_tIfEEvlT2_lllPT3_,@function
_ZL35rocblas_iamax_iamin_kernel_part1_64ILi1024E26rocblas_fetch_amax_amin_64IfE22rocblas_reduce_amin_64PKf24rocblas_index_64_value_tIfEEvlT2_lllPT3_: ; @_ZL35rocblas_iamax_iamin_kernel_part1_64ILi1024E26rocblas_fetch_amax_amin_64IfE22rocblas_reduce_amin_64PKf24rocblas_index_64_value_tIfEEvlT2_lllPT3_
; %bb.0:
	s_clause 0x1
	s_load_b256 s[8:15], s[0:1], 0x0
	s_load_b128 s[4:7], s[0:1], 0x20
	s_bfe_u32 s2, ttmp6, 0x40014
	s_lshr_b32 s3, ttmp7, 16
	s_add_co_i32 s2, s2, 1
	s_bfe_u32 s17, ttmp6, 0x4000c
	s_mul_i32 s2, s3, s2
	s_bfe_u32 s16, ttmp6, 0x40008
	s_add_co_i32 s17, s17, 1
	s_add_co_i32 s2, s16, s2
	s_and_b32 s16, ttmp6, 15
	s_mul_i32 s17, ttmp9, s17
	s_getreg_b32 s18, hwreg(HW_REG_IB_STS2, 6, 4)
	s_add_co_i32 s16, s16, s17
	s_cmp_eq_u32 s18, 0
	s_cselect_b32 s16, ttmp9, s16
	s_cselect_b32 s18, s3, s2
	s_wait_kmcnt 0x0
	v_cmp_lt_i64_e64 s19, s[8:9], 1
	s_and_b32 vcc_lo, exec_lo, s19
	s_mov_b32 s19, 0
	s_cbranch_vccnz .LBB10_53
; %bb.1:
	v_lshl_or_b32 v6, s16, 10, v0
	v_dual_mov_b32 v7, 0 :: v_dual_bitop2_b32 v2, 31, v0 bitop3:0x40
	v_mbcnt_lo_u32_b32 v3, -1, 0
	s_load_b32 s17, s[0:1], 0x30
	s_mul_u64 s[4:5], s[4:5], s[18:19]
	s_delay_alu instid0(VALU_DEP_2)
	v_mul_u64_e32 v[10:11], s[14:15], v[6:7]
	v_lshlrev_b32_e32 v1, 4, v2
	v_cmp_gt_u32_e32 vcc_lo, 24, v3
	s_lshl_b64 s[12:13], s[12:13], 2
	s_lshl_b64 s[4:5], s[4:5], 2
	s_add_nc_u64 s[10:11], s[10:11], s[12:13]
	v_lshl_or_b32 v5, v3, 2, 64
	v_cndmask_b32_e64 v4, 0, 8, vcc_lo
	v_cmp_gt_u32_e32 vcc_lo, 28, v3
	v_cmp_eq_u32_e64 s3, 0, v2
	s_add_nc_u64 s[4:5], s[10:11], s[4:5]
	s_mov_b32 s21, s19
	v_add_lshl_u32 v16, v4, v3, 2
	v_cndmask_b32_e64 v8, 0, 4, vcc_lo
	v_cmp_gt_u32_e32 vcc_lo, 30, v3
	v_lshrrev_b32_e32 v4, 1, v0
	v_cmp_gt_u32_e64 s2, 32, v0
	s_mov_b64 s[12:13], 0
	v_add_lshl_u32 v17, v8, v3, 2
	v_cndmask_b32_e64 v9, 0, 2, vcc_lo
	v_cmp_ne_u32_e32 vcc_lo, 31, v3
	v_and_b32_e32 v20, 0x1f0, v4
	s_wait_kmcnt 0x0
	s_lshl_b32 s20, s17, 10
                                        ; implicit-def: $vgpr21
	v_add_lshl_u32 v18, v9, v3, 2
	v_add_co_ci_u32_e64 v12, null, 0, v3, vcc_lo
	v_cmp_ne_u32_e32 vcc_lo, 0, v0
	v_mov_b64_e32 v[8:9], 0
	v_mov_b64_e32 v[2:3], 0
	s_delay_alu instid0(VALU_DEP_4)
	v_lshlrev_b32_e32 v19, 2, v12
	s_mul_u64 s[10:11], s[14:15], s[20:21]
	v_lshl_add_u64 v[10:11], v[10:11], 2, s[4:5]
	s_lshl_b64 s[10:11], s[10:11], 2
	s_xor_b32 s14, vcc_lo, -1
	s_branch .LBB10_4
.LBB10_2:                               ;   in Loop: Header=BB10_4 Depth=1
	s_or_b32 exec_lo, exec_lo, s4
	s_delay_alu instid0(VALU_DEP_1)
	v_mov_b64_e32 v[2:3], v[12:13]
	v_mov_b32_e32 v4, v14
.LBB10_3:                               ;   in Loop: Header=BB10_4 Depth=1
	s_or_b32 exec_lo, exec_lo, s5
	s_add_nc_u64 s[12:13], s[12:13], s[20:21]
	v_add_nc_u64_e32 v[10:11], s[10:11], v[10:11]
	v_cmp_ge_i64_e64 s4, s[12:13], s[8:9]
	s_and_b32 vcc_lo, exec_lo, s4
	s_cbranch_vccnz .LBB10_54
.LBB10_4:                               ; =>This Inner Loop Header: Depth=1
	v_add_nc_u64_e32 v[14:15], s[12:13], v[6:7]
	v_mov_b64_e32 v[12:13], 0
	s_mov_b32 s4, exec_lo
	s_delay_alu instid0(VALU_DEP_2)
	v_cmpx_gt_i64_e64 s[8:9], v[14:15]
	s_cbranch_execz .LBB10_6
; %bb.5:                                ;   in Loop: Header=BB10_4 Depth=1
	s_wait_dscnt 0x0
	global_load_b32 v21, v[10:11], off
	v_add_nc_u64_e32 v[12:13], 1, v[14:15]
	s_wait_loadcnt 0x0
	v_cmp_gt_f32_e32 vcc_lo, 0, v21
	v_cndmask_b32_e64 v21, v21, -v21, vcc_lo
.LBB10_6:                               ;   in Loop: Header=BB10_4 Depth=1
	s_wait_xcnt 0x0
	s_or_b32 exec_lo, exec_lo, s4
	s_and_saveexec_b32 s4, s2
	s_cbranch_execz .LBB10_8
; %bb.7:                                ;   in Loop: Header=BB10_4 Depth=1
	ds_store_b64 v1, v[8:9]
	ds_store_b32 v1, v7 offset:8
.LBB10_8:                               ;   in Loop: Header=BB10_4 Depth=1
	s_or_b32 exec_lo, exec_lo, s4
	ds_bpermute_b32 v14, v5, v12
	ds_bpermute_b32 v15, v5, v13
	s_wait_dscnt 0x2
	ds_bpermute_b32 v23, v5, v21
	v_mov_b32_e32 v22, v21
	s_mov_b32 s5, exec_lo
	s_wait_dscnt 0x0
	s_barrier_signal -1
	s_barrier_wait -1
	v_cmpx_ne_u64_e32 0, v[14:15]
	s_cbranch_execz .LBB10_12
; %bb.9:                                ;   in Loop: Header=BB10_4 Depth=1
	v_cmp_ne_u64_e32 vcc_lo, 0, v[12:13]
	v_cmp_ngt_f32_e64 s4, v21, v23
	s_and_b32 s15, vcc_lo, s4
	s_delay_alu instid0(SALU_CYCLE_1)
	s_and_saveexec_b32 s4, s15
	s_cbranch_execz .LBB10_11
; %bb.10:                               ;   in Loop: Header=BB10_4 Depth=1
	v_min_i64 v[14:15], v[14:15], v[12:13]
	v_cmp_eq_f32_e32 vcc_lo, v21, v23
	v_mov_b32_e32 v23, v21
	s_delay_alu instid0(VALU_DEP_3)
	v_dual_cndmask_b32 v15, v13, v15 :: v_dual_cndmask_b32 v14, v12, v14
.LBB10_11:                              ;   in Loop: Header=BB10_4 Depth=1
	s_or_b32 exec_lo, exec_lo, s4
	s_delay_alu instid0(VALU_DEP_1) | instskip(NEXT) | instid1(VALU_DEP_3)
	v_mov_b64_e32 v[12:13], v[14:15]
	v_dual_mov_b32 v21, v23 :: v_dual_mov_b32 v22, v23
.LBB10_12:                              ;   in Loop: Header=BB10_4 Depth=1
	s_or_b32 exec_lo, exec_lo, s5
	ds_bpermute_b32 v14, v16, v12
	ds_bpermute_b32 v15, v16, v13
	;; [unrolled: 1-line block ×3, first 2 shown]
	s_mov_b32 s5, exec_lo
	s_wait_dscnt 0x1
	v_cmpx_ne_u64_e32 0, v[14:15]
	s_cbranch_execz .LBB10_16
; %bb.13:                               ;   in Loop: Header=BB10_4 Depth=1
	v_cmp_ne_u64_e32 vcc_lo, 0, v[12:13]
	s_wait_dscnt 0x0
	v_cmp_ngt_f32_e64 s4, v22, v23
	v_mov_b32_e32 v24, v23
	s_and_b32 s15, vcc_lo, s4
	s_delay_alu instid0(SALU_CYCLE_1)
	s_and_saveexec_b32 s4, s15
	s_cbranch_execz .LBB10_15
; %bb.14:                               ;   in Loop: Header=BB10_4 Depth=1
	v_min_i64 v[14:15], v[14:15], v[12:13]
	v_cmp_eq_f32_e32 vcc_lo, v22, v23
	v_dual_mov_b32 v24, v22 :: v_dual_mov_b32 v23, v21
	s_delay_alu instid0(VALU_DEP_3)
	v_dual_cndmask_b32 v14, v12, v14 :: v_dual_cndmask_b32 v15, v13, v15
.LBB10_15:                              ;   in Loop: Header=BB10_4 Depth=1
	s_or_b32 exec_lo, exec_lo, s4
	s_delay_alu instid0(VALU_DEP_1) | instskip(NEXT) | instid1(VALU_DEP_2)
	v_mov_b64_e32 v[12:13], v[14:15]
	v_dual_mov_b32 v21, v23 :: v_dual_mov_b32 v22, v24
.LBB10_16:                              ;   in Loop: Header=BB10_4 Depth=1
	s_or_b32 exec_lo, exec_lo, s5
	ds_bpermute_b32 v14, v17, v12
	ds_bpermute_b32 v15, v17, v13
	s_wait_dscnt 0x2
	ds_bpermute_b32 v23, v17, v21
	s_mov_b32 s5, exec_lo
	s_wait_dscnt 0x1
	v_cmpx_ne_u64_e32 0, v[14:15]
	s_cbranch_execz .LBB10_20
; %bb.17:                               ;   in Loop: Header=BB10_4 Depth=1
	v_cmp_ne_u64_e32 vcc_lo, 0, v[12:13]
	s_wait_dscnt 0x0
	v_cmp_ngt_f32_e64 s4, v22, v23
	v_mov_b32_e32 v24, v23
	s_and_b32 s15, vcc_lo, s4
	s_delay_alu instid0(SALU_CYCLE_1)
	s_and_saveexec_b32 s4, s15
	s_cbranch_execz .LBB10_19
; %bb.18:                               ;   in Loop: Header=BB10_4 Depth=1
	v_min_i64 v[14:15], v[14:15], v[12:13]
	v_cmp_eq_f32_e32 vcc_lo, v22, v23
	v_dual_mov_b32 v24, v22 :: v_dual_mov_b32 v23, v21
	s_delay_alu instid0(VALU_DEP_3)
	v_dual_cndmask_b32 v14, v12, v14 :: v_dual_cndmask_b32 v15, v13, v15
.LBB10_19:                              ;   in Loop: Header=BB10_4 Depth=1
	s_or_b32 exec_lo, exec_lo, s4
	s_delay_alu instid0(VALU_DEP_1) | instskip(NEXT) | instid1(VALU_DEP_2)
	v_mov_b64_e32 v[12:13], v[14:15]
	v_dual_mov_b32 v21, v23 :: v_dual_mov_b32 v22, v24
.LBB10_20:                              ;   in Loop: Header=BB10_4 Depth=1
	s_or_b32 exec_lo, exec_lo, s5
	ds_bpermute_b32 v14, v18, v12
	ds_bpermute_b32 v15, v18, v13
	s_wait_dscnt 0x2
	ds_bpermute_b32 v23, v18, v21
	s_mov_b32 s5, exec_lo
	s_wait_dscnt 0x1
	v_cmpx_ne_u64_e32 0, v[14:15]
	s_cbranch_execz .LBB10_24
; %bb.21:                               ;   in Loop: Header=BB10_4 Depth=1
	v_cmp_ne_u64_e32 vcc_lo, 0, v[12:13]
	s_wait_dscnt 0x0
	v_cmp_ngt_f32_e64 s4, v22, v23
	v_mov_b32_e32 v24, v23
	s_and_b32 s15, vcc_lo, s4
	s_delay_alu instid0(SALU_CYCLE_1)
	s_and_saveexec_b32 s4, s15
	s_cbranch_execz .LBB10_23
; %bb.22:                               ;   in Loop: Header=BB10_4 Depth=1
	v_min_i64 v[14:15], v[14:15], v[12:13]
	v_cmp_eq_f32_e32 vcc_lo, v22, v23
	v_dual_mov_b32 v24, v22 :: v_dual_mov_b32 v23, v21
	s_delay_alu instid0(VALU_DEP_3)
	v_dual_cndmask_b32 v14, v12, v14 :: v_dual_cndmask_b32 v15, v13, v15
.LBB10_23:                              ;   in Loop: Header=BB10_4 Depth=1
	s_or_b32 exec_lo, exec_lo, s4
	s_delay_alu instid0(VALU_DEP_1) | instskip(NEXT) | instid1(VALU_DEP_2)
	v_mov_b64_e32 v[12:13], v[14:15]
	v_dual_mov_b32 v21, v23 :: v_dual_mov_b32 v22, v24
.LBB10_24:                              ;   in Loop: Header=BB10_4 Depth=1
	s_or_b32 exec_lo, exec_lo, s5
	ds_bpermute_b32 v14, v19, v12
	ds_bpermute_b32 v15, v19, v13
	;; [unrolled: 1-line block ×3, first 2 shown]
	s_mov_b32 s15, exec_lo
	s_wait_dscnt 0x1
	v_cmpx_ne_u64_e32 0, v[14:15]
	s_cbranch_execz .LBB10_26
; %bb.25:                               ;   in Loop: Header=BB10_4 Depth=1
	v_min_i64 v[24:25], v[14:15], v[12:13]
	s_wait_dscnt 0x0
	v_cmp_eq_f32_e32 vcc_lo, v22, v21
	v_cmp_eq_u64_e64 s4, 0, v[12:13]
	v_cmp_gt_f32_e64 s5, v22, v21
	s_delay_alu instid0(VALU_DEP_4)
	v_dual_cndmask_b32 v12, v12, v24 :: v_dual_cndmask_b32 v13, v13, v25
	s_or_b32 vcc_lo, s4, s5
	s_delay_alu instid0(VALU_DEP_1) | instid1(SALU_CYCLE_1)
	v_dual_cndmask_b32 v22, v22, v21, vcc_lo :: v_dual_cndmask_b32 v12, v12, v14, vcc_lo
	s_delay_alu instid0(VALU_DEP_2)
	v_cndmask_b32_e32 v13, v13, v15, vcc_lo
.LBB10_26:                              ;   in Loop: Header=BB10_4 Depth=1
	s_or_b32 exec_lo, exec_lo, s15
	s_and_saveexec_b32 s4, s3
	s_cbranch_execz .LBB10_28
; %bb.27:                               ;   in Loop: Header=BB10_4 Depth=1
	ds_store_b64 v20, v[12:13]
	ds_store_b32 v20, v22 offset:8
.LBB10_28:                              ;   in Loop: Header=BB10_4 Depth=1
	s_or_b32 exec_lo, exec_lo, s4
	v_mov_b64_e32 v[12:13], 0
	s_wait_dscnt 0x0
	v_mov_b32_e32 v21, 0
	s_barrier_signal -1
	s_barrier_wait -1
	s_and_saveexec_b32 s4, s2
	s_cbranch_execz .LBB10_30
; %bb.29:                               ;   in Loop: Header=BB10_4 Depth=1
	ds_load_b64 v[12:13], v1
	ds_load_b32 v21, v1 offset:8
.LBB10_30:                              ;   in Loop: Header=BB10_4 Depth=1
	s_or_b32 exec_lo, exec_lo, s4
	s_and_saveexec_b32 s15, s2
	s_cbranch_execz .LBB10_50
; %bb.31:                               ;   in Loop: Header=BB10_4 Depth=1
	s_wait_dscnt 0x1
	ds_bpermute_b32 v14, v5, v12
	ds_bpermute_b32 v15, v5, v13
	s_wait_dscnt 0x2
	ds_bpermute_b32 v23, v5, v21
	v_mov_b32_e32 v22, v21
	s_mov_b32 s5, exec_lo
	s_wait_dscnt 0x1
	v_cmpx_ne_u64_e32 0, v[14:15]
	s_cbranch_execz .LBB10_35
; %bb.32:                               ;   in Loop: Header=BB10_4 Depth=1
	v_cmp_ne_u64_e32 vcc_lo, 0, v[12:13]
	s_wait_dscnt 0x0
	v_cmp_ngt_f32_e64 s4, v21, v23
	s_and_b32 s17, vcc_lo, s4
	s_delay_alu instid0(SALU_CYCLE_1)
	s_and_saveexec_b32 s4, s17
	s_cbranch_execz .LBB10_34
; %bb.33:                               ;   in Loop: Header=BB10_4 Depth=1
	v_min_i64 v[14:15], v[14:15], v[12:13]
	v_cmp_eq_f32_e32 vcc_lo, v21, v23
	v_mov_b32_e32 v23, v21
	s_delay_alu instid0(VALU_DEP_3)
	v_dual_cndmask_b32 v15, v13, v15 :: v_dual_cndmask_b32 v14, v12, v14
.LBB10_34:                              ;   in Loop: Header=BB10_4 Depth=1
	s_or_b32 exec_lo, exec_lo, s4
	s_delay_alu instid0(VALU_DEP_1) | instskip(NEXT) | instid1(VALU_DEP_3)
	v_mov_b64_e32 v[12:13], v[14:15]
	v_dual_mov_b32 v21, v23 :: v_dual_mov_b32 v22, v23
.LBB10_35:                              ;   in Loop: Header=BB10_4 Depth=1
	s_or_b32 exec_lo, exec_lo, s5
	ds_bpermute_b32 v14, v16, v12
	ds_bpermute_b32 v15, v16, v13
	s_wait_dscnt 0x2
	ds_bpermute_b32 v23, v16, v21
	s_mov_b32 s5, exec_lo
	s_wait_dscnt 0x1
	v_cmpx_ne_u64_e32 0, v[14:15]
	s_cbranch_execz .LBB10_39
; %bb.36:                               ;   in Loop: Header=BB10_4 Depth=1
	v_cmp_ne_u64_e32 vcc_lo, 0, v[12:13]
	s_wait_dscnt 0x0
	v_cmp_ngt_f32_e64 s4, v22, v23
	v_mov_b32_e32 v24, v23
	s_and_b32 s17, vcc_lo, s4
	s_delay_alu instid0(SALU_CYCLE_1)
	s_and_saveexec_b32 s4, s17
	s_cbranch_execz .LBB10_38
; %bb.37:                               ;   in Loop: Header=BB10_4 Depth=1
	v_min_i64 v[14:15], v[14:15], v[12:13]
	v_cmp_eq_f32_e32 vcc_lo, v22, v23
	v_dual_mov_b32 v24, v22 :: v_dual_mov_b32 v23, v21
	s_delay_alu instid0(VALU_DEP_3)
	v_dual_cndmask_b32 v14, v12, v14 :: v_dual_cndmask_b32 v15, v13, v15
.LBB10_38:                              ;   in Loop: Header=BB10_4 Depth=1
	s_or_b32 exec_lo, exec_lo, s4
	s_delay_alu instid0(VALU_DEP_1) | instskip(NEXT) | instid1(VALU_DEP_2)
	v_mov_b64_e32 v[12:13], v[14:15]
	v_dual_mov_b32 v21, v23 :: v_dual_mov_b32 v22, v24
.LBB10_39:                              ;   in Loop: Header=BB10_4 Depth=1
	s_or_b32 exec_lo, exec_lo, s5
	ds_bpermute_b32 v14, v17, v12
	ds_bpermute_b32 v15, v17, v13
	s_wait_dscnt 0x2
	ds_bpermute_b32 v23, v17, v21
	s_mov_b32 s5, exec_lo
	s_wait_dscnt 0x1
	v_cmpx_ne_u64_e32 0, v[14:15]
	s_cbranch_execz .LBB10_43
; %bb.40:                               ;   in Loop: Header=BB10_4 Depth=1
	v_cmp_ne_u64_e32 vcc_lo, 0, v[12:13]
	s_wait_dscnt 0x0
	v_cmp_ngt_f32_e64 s4, v22, v23
	v_mov_b32_e32 v24, v23
	s_and_b32 s17, vcc_lo, s4
	s_delay_alu instid0(SALU_CYCLE_1)
	s_and_saveexec_b32 s4, s17
	s_cbranch_execz .LBB10_42
; %bb.41:                               ;   in Loop: Header=BB10_4 Depth=1
	v_min_i64 v[14:15], v[14:15], v[12:13]
	v_cmp_eq_f32_e32 vcc_lo, v22, v23
	v_dual_mov_b32 v24, v22 :: v_dual_mov_b32 v23, v21
	s_delay_alu instid0(VALU_DEP_3)
	v_dual_cndmask_b32 v14, v12, v14 :: v_dual_cndmask_b32 v15, v13, v15
.LBB10_42:                              ;   in Loop: Header=BB10_4 Depth=1
	s_or_b32 exec_lo, exec_lo, s4
	s_delay_alu instid0(VALU_DEP_1) | instskip(NEXT) | instid1(VALU_DEP_2)
	v_mov_b64_e32 v[12:13], v[14:15]
	v_dual_mov_b32 v21, v23 :: v_dual_mov_b32 v22, v24
.LBB10_43:                              ;   in Loop: Header=BB10_4 Depth=1
	;; [unrolled: 30-line block ×3, first 2 shown]
	s_or_b32 exec_lo, exec_lo, s5
	ds_bpermute_b32 v14, v19, v12
	ds_bpermute_b32 v15, v19, v13
	;; [unrolled: 1-line block ×3, first 2 shown]
	s_mov_b32 s17, exec_lo
	s_wait_dscnt 0x1
	v_cmpx_ne_u64_e32 0, v[14:15]
	s_cbranch_execz .LBB10_49
; %bb.48:                               ;   in Loop: Header=BB10_4 Depth=1
	v_min_i64 v[24:25], v[14:15], v[12:13]
	s_wait_dscnt 0x0
	v_cmp_eq_f32_e32 vcc_lo, v22, v21
	v_cmp_eq_u64_e64 s4, 0, v[12:13]
	v_cmp_gt_f32_e64 s5, v22, v21
	s_delay_alu instid0(VALU_DEP_4)
	v_dual_cndmask_b32 v12, v12, v24 :: v_dual_cndmask_b32 v13, v13, v25
	s_or_b32 vcc_lo, s4, s5
	s_delay_alu instid0(VALU_DEP_1) | instid1(SALU_CYCLE_1)
	v_dual_cndmask_b32 v22, v22, v21, vcc_lo :: v_dual_cndmask_b32 v12, v12, v14, vcc_lo
	s_delay_alu instid0(VALU_DEP_2)
	v_cndmask_b32_e32 v13, v13, v15, vcc_lo
.LBB10_49:                              ;   in Loop: Header=BB10_4 Depth=1
	s_or_b32 exec_lo, exec_lo, s17
	s_wait_dscnt 0x0
	s_delay_alu instid0(VALU_DEP_2)
	v_mov_b32_e32 v21, v22
.LBB10_50:                              ;   in Loop: Header=BB10_4 Depth=1
	s_or_b32 exec_lo, exec_lo, s15
	s_wait_dscnt 0x1
	v_cmp_ne_u64_e32 vcc_lo, 0, v[12:13]
	s_and_b32 s4, s14, vcc_lo
	s_delay_alu instid0(SALU_CYCLE_1)
	s_and_saveexec_b32 s5, s4
	s_cbranch_execz .LBB10_3
; %bb.51:                               ;   in Loop: Header=BB10_4 Depth=1
	v_cmp_ne_u64_e32 vcc_lo, 0, v[2:3]
	s_wait_dscnt 0x0
	v_cmp_nlt_f32_e64 s4, v21, v4
	v_mov_b32_e32 v14, v21
	s_and_b32 s15, vcc_lo, s4
	s_delay_alu instid0(SALU_CYCLE_1)
	s_and_saveexec_b32 s4, s15
	s_cbranch_execz .LBB10_2
; %bb.52:                               ;   in Loop: Header=BB10_4 Depth=1
	v_min_i64 v[12:13], v[12:13], v[2:3]
	v_cmp_eq_f32_e32 vcc_lo, v4, v21
	s_delay_alu instid0(VALU_DEP_2) | instskip(NEXT) | instid1(VALU_DEP_3)
	v_dual_mov_b32 v14, v4 :: v_dual_cndmask_b32 v13, v3, v13
	v_cndmask_b32_e32 v12, v2, v12, vcc_lo
	s_branch .LBB10_2
.LBB10_53:
	v_mov_b64_e32 v[2:3], 0
.LBB10_54:
	s_mov_b32 s3, 0
	s_mov_b32 s2, exec_lo
	v_cmpx_eq_u32_e32 0, v0
	s_cbranch_execz .LBB10_56
; %bb.55:
	s_load_b32 s2, s[0:1], 0x30
	s_mov_b32 s17, s3
	v_mov_b32_e32 v0, 0
	s_wait_kmcnt 0x0
	s_mul_u64 s[0:1], s[2:3], s[18:19]
	s_lshl_b64 s[2:3], s[16:17], 4
	s_lshl_b64 s[0:1], s[0:1], 4
	s_delay_alu instid0(SALU_CYCLE_1) | instskip(NEXT) | instid1(SALU_CYCLE_1)
	s_add_nc_u64 s[0:1], s[6:7], s[0:1]
	s_add_nc_u64 s[0:1], s[0:1], s[2:3]
	global_store_b96 v0, v[2:4], s[0:1]
.LBB10_56:
	s_endpgm
	.section	.rodata,"a",@progbits
	.p2align	6, 0x0
	.amdhsa_kernel _ZL35rocblas_iamax_iamin_kernel_part1_64ILi1024E26rocblas_fetch_amax_amin_64IfE22rocblas_reduce_amin_64PKf24rocblas_index_64_value_tIfEEvlT2_lllPT3_
		.amdhsa_group_segment_fixed_size 512
		.amdhsa_private_segment_fixed_size 0
		.amdhsa_kernarg_size 304
		.amdhsa_user_sgpr_count 2
		.amdhsa_user_sgpr_dispatch_ptr 0
		.amdhsa_user_sgpr_queue_ptr 0
		.amdhsa_user_sgpr_kernarg_segment_ptr 1
		.amdhsa_user_sgpr_dispatch_id 0
		.amdhsa_user_sgpr_kernarg_preload_length 0
		.amdhsa_user_sgpr_kernarg_preload_offset 0
		.amdhsa_user_sgpr_private_segment_size 0
		.amdhsa_wavefront_size32 1
		.amdhsa_uses_dynamic_stack 0
		.amdhsa_enable_private_segment 0
		.amdhsa_system_sgpr_workgroup_id_x 1
		.amdhsa_system_sgpr_workgroup_id_y 0
		.amdhsa_system_sgpr_workgroup_id_z 1
		.amdhsa_system_sgpr_workgroup_info 0
		.amdhsa_system_vgpr_workitem_id 0
		.amdhsa_next_free_vgpr 26
		.amdhsa_next_free_sgpr 22
		.amdhsa_named_barrier_count 0
		.amdhsa_reserve_vcc 1
		.amdhsa_float_round_mode_32 0
		.amdhsa_float_round_mode_16_64 0
		.amdhsa_float_denorm_mode_32 3
		.amdhsa_float_denorm_mode_16_64 3
		.amdhsa_fp16_overflow 0
		.amdhsa_memory_ordered 1
		.amdhsa_forward_progress 1
		.amdhsa_inst_pref_size 17
		.amdhsa_round_robin_scheduling 0
		.amdhsa_exception_fp_ieee_invalid_op 0
		.amdhsa_exception_fp_denorm_src 0
		.amdhsa_exception_fp_ieee_div_zero 0
		.amdhsa_exception_fp_ieee_overflow 0
		.amdhsa_exception_fp_ieee_underflow 0
		.amdhsa_exception_fp_ieee_inexact 0
		.amdhsa_exception_int_div_zero 0
	.end_amdhsa_kernel
	.section	.text._ZL35rocblas_iamax_iamin_kernel_part1_64ILi1024E26rocblas_fetch_amax_amin_64IfE22rocblas_reduce_amin_64PKf24rocblas_index_64_value_tIfEEvlT2_lllPT3_,"axG",@progbits,_ZL35rocblas_iamax_iamin_kernel_part1_64ILi1024E26rocblas_fetch_amax_amin_64IfE22rocblas_reduce_amin_64PKf24rocblas_index_64_value_tIfEEvlT2_lllPT3_,comdat
.Lfunc_end10:
	.size	_ZL35rocblas_iamax_iamin_kernel_part1_64ILi1024E26rocblas_fetch_amax_amin_64IfE22rocblas_reduce_amin_64PKf24rocblas_index_64_value_tIfEEvlT2_lllPT3_, .Lfunc_end10-_ZL35rocblas_iamax_iamin_kernel_part1_64ILi1024E26rocblas_fetch_amax_amin_64IfE22rocblas_reduce_amin_64PKf24rocblas_index_64_value_tIfEEvlT2_lllPT3_
                                        ; -- End function
	.set _ZL35rocblas_iamax_iamin_kernel_part1_64ILi1024E26rocblas_fetch_amax_amin_64IfE22rocblas_reduce_amin_64PKf24rocblas_index_64_value_tIfEEvlT2_lllPT3_.num_vgpr, 26
	.set _ZL35rocblas_iamax_iamin_kernel_part1_64ILi1024E26rocblas_fetch_amax_amin_64IfE22rocblas_reduce_amin_64PKf24rocblas_index_64_value_tIfEEvlT2_lllPT3_.num_agpr, 0
	.set _ZL35rocblas_iamax_iamin_kernel_part1_64ILi1024E26rocblas_fetch_amax_amin_64IfE22rocblas_reduce_amin_64PKf24rocblas_index_64_value_tIfEEvlT2_lllPT3_.numbered_sgpr, 22
	.set _ZL35rocblas_iamax_iamin_kernel_part1_64ILi1024E26rocblas_fetch_amax_amin_64IfE22rocblas_reduce_amin_64PKf24rocblas_index_64_value_tIfEEvlT2_lllPT3_.num_named_barrier, 0
	.set _ZL35rocblas_iamax_iamin_kernel_part1_64ILi1024E26rocblas_fetch_amax_amin_64IfE22rocblas_reduce_amin_64PKf24rocblas_index_64_value_tIfEEvlT2_lllPT3_.private_seg_size, 0
	.set _ZL35rocblas_iamax_iamin_kernel_part1_64ILi1024E26rocblas_fetch_amax_amin_64IfE22rocblas_reduce_amin_64PKf24rocblas_index_64_value_tIfEEvlT2_lllPT3_.uses_vcc, 1
	.set _ZL35rocblas_iamax_iamin_kernel_part1_64ILi1024E26rocblas_fetch_amax_amin_64IfE22rocblas_reduce_amin_64PKf24rocblas_index_64_value_tIfEEvlT2_lllPT3_.uses_flat_scratch, 0
	.set _ZL35rocblas_iamax_iamin_kernel_part1_64ILi1024E26rocblas_fetch_amax_amin_64IfE22rocblas_reduce_amin_64PKf24rocblas_index_64_value_tIfEEvlT2_lllPT3_.has_dyn_sized_stack, 0
	.set _ZL35rocblas_iamax_iamin_kernel_part1_64ILi1024E26rocblas_fetch_amax_amin_64IfE22rocblas_reduce_amin_64PKf24rocblas_index_64_value_tIfEEvlT2_lllPT3_.has_recursion, 0
	.set _ZL35rocblas_iamax_iamin_kernel_part1_64ILi1024E26rocblas_fetch_amax_amin_64IfE22rocblas_reduce_amin_64PKf24rocblas_index_64_value_tIfEEvlT2_lllPT3_.has_indirect_call, 0
	.section	.AMDGPU.csdata,"",@progbits
; Kernel info:
; codeLenInByte = 2084
; TotalNumSgprs: 24
; NumVgprs: 26
; ScratchSize: 0
; MemoryBound: 0
; FloatMode: 240
; IeeeMode: 1
; LDSByteSize: 512 bytes/workgroup (compile time only)
; SGPRBlocks: 0
; VGPRBlocks: 1
; NumSGPRsForWavesPerEU: 24
; NumVGPRsForWavesPerEU: 26
; NamedBarCnt: 0
; Occupancy: 16
; WaveLimiterHint : 0
; COMPUTE_PGM_RSRC2:SCRATCH_EN: 0
; COMPUTE_PGM_RSRC2:USER_SGPR: 2
; COMPUTE_PGM_RSRC2:TRAP_HANDLER: 0
; COMPUTE_PGM_RSRC2:TGID_X_EN: 1
; COMPUTE_PGM_RSRC2:TGID_Y_EN: 0
; COMPUTE_PGM_RSRC2:TGID_Z_EN: 1
; COMPUTE_PGM_RSRC2:TIDIG_COMP_CNT: 0
	.section	.text._ZL35rocblas_iamax_iamin_kernel_part2_64ILi1024E22rocblas_reduce_amin_6424rocblas_index_64_value_tIfElEviPT1_PT2_,"axG",@progbits,_ZL35rocblas_iamax_iamin_kernel_part2_64ILi1024E22rocblas_reduce_amin_6424rocblas_index_64_value_tIfElEviPT1_PT2_,comdat
	.globl	_ZL35rocblas_iamax_iamin_kernel_part2_64ILi1024E22rocblas_reduce_amin_6424rocblas_index_64_value_tIfElEviPT1_PT2_ ; -- Begin function _ZL35rocblas_iamax_iamin_kernel_part2_64ILi1024E22rocblas_reduce_amin_6424rocblas_index_64_value_tIfElEviPT1_PT2_
	.p2align	8
	.type	_ZL35rocblas_iamax_iamin_kernel_part2_64ILi1024E22rocblas_reduce_amin_6424rocblas_index_64_value_tIfElEviPT1_PT2_,@function
_ZL35rocblas_iamax_iamin_kernel_part2_64ILi1024E22rocblas_reduce_amin_6424rocblas_index_64_value_tIfElEviPT1_PT2_: ; @_ZL35rocblas_iamax_iamin_kernel_part2_64ILi1024E22rocblas_reduce_amin_6424rocblas_index_64_value_tIfElEviPT1_PT2_
; %bb.0:
	s_clause 0x1
	s_load_b32 s2, s[0:1], 0x0
	s_load_b128 s[4:7], s[0:1], 0x8
	v_mov_b64_e32 v[2:3], 0
	s_getreg_b32 s8, hwreg(HW_REG_IB_STS2, 6, 4)
	s_mov_b32 s9, exec_lo
	s_wait_kmcnt 0x0
	v_cmpx_gt_i32_e64 s2, v0
	s_cbranch_execz .LBB11_10
; %bb.1:
	s_bfe_u32 s0, ttmp6, 0x4000c
	s_and_b32 s1, ttmp6, 15
	s_add_co_i32 s0, s0, 1
	s_mov_b32 s3, 0
	s_mul_i32 s0, ttmp9, s0
	v_lshlrev_b32_e32 v6, 4, v0
	s_add_co_i32 s1, s1, s0
	s_cmp_eq_u32 s8, 0
	v_or_b32_e32 v1, 0x400, v0
	s_cselect_b32 s0, ttmp9, s1
	s_mov_b32 s1, s3
	s_delay_alu instid0(SALU_CYCLE_1) | instskip(NEXT) | instid1(SALU_CYCLE_1)
	s_mul_u64 s[0:1], s[2:3], s[0:1]
	s_lshl_b64 s[0:1], s[0:1], 4
	s_delay_alu instid0(SALU_CYCLE_1)
	s_add_nc_u64 s[0:1], s[4:5], s[0:1]
	s_mov_b32 s4, exec_lo
	global_load_b96 v[2:4], v6, s[0:1]
	s_wait_xcnt 0x0
	v_cmpx_gt_u32_e64 s2, v1
	s_cbranch_execz .LBB11_9
; %bb.2:
	v_mov_b32_e32 v7, 0
	s_delay_alu instid0(VALU_DEP_1) | instskip(NEXT) | instid1(VALU_DEP_1)
	v_add_nc_u64_e32 v[6:7], s[0:1], v[6:7]
	v_add_nc_u64_e32 v[6:7], 0x4000, v[6:7]
	s_branch .LBB11_5
.LBB11_3:                               ;   in Loop: Header=BB11_5 Depth=1
	s_or_b32 exec_lo, exec_lo, s0
	s_delay_alu instid0(VALU_DEP_1)
	v_mov_b64_e32 v[2:3], v[8:9]
	v_mov_b32_e32 v4, v5
.LBB11_4:                               ;   in Loop: Header=BB11_5 Depth=1
	s_or_b32 exec_lo, exec_lo, s1
	v_add_nc_u32_e32 v1, 0x400, v1
	v_add_nc_u64_e32 v[6:7], 0x4000, v[6:7]
	s_delay_alu instid0(VALU_DEP_2) | instskip(SKIP_1) | instid1(SALU_CYCLE_1)
	v_cmp_le_i32_e32 vcc_lo, s2, v1
	s_or_b32 s3, vcc_lo, s3
	s_and_not1_b32 exec_lo, exec_lo, s3
	s_cbranch_execz .LBB11_8
.LBB11_5:                               ; =>This Inner Loop Header: Depth=1
	global_load_b64 v[8:9], v[6:7], off
	s_mov_b32 s1, exec_lo
	s_wait_loadcnt 0x0
	v_cmpx_ne_u64_e32 0, v[8:9]
	s_cbranch_execz .LBB11_4
; %bb.6:                                ;   in Loop: Header=BB11_5 Depth=1
	global_load_b32 v5, v[6:7], off offset:8
	v_cmp_ne_u64_e32 vcc_lo, 0, v[2:3]
	s_wait_loadcnt 0x0
	v_cmp_nlt_f32_e64 s0, v5, v4
	s_and_b32 s5, vcc_lo, s0
	s_delay_alu instid0(SALU_CYCLE_1)
	s_and_saveexec_b32 s0, s5
	s_cbranch_execz .LBB11_3
; %bb.7:                                ;   in Loop: Header=BB11_5 Depth=1
	v_min_i64 v[8:9], v[8:9], v[2:3]
	v_cmp_eq_f32_e32 vcc_lo, v4, v5
	s_delay_alu instid0(VALU_DEP_2) | instskip(NEXT) | instid1(VALU_DEP_3)
	v_dual_mov_b32 v5, v4 :: v_dual_cndmask_b32 v9, v3, v9, vcc_lo
	v_cndmask_b32_e32 v8, v2, v8, vcc_lo
	s_branch .LBB11_3
.LBB11_8:
	s_or_b32 exec_lo, exec_lo, s3
.LBB11_9:
	s_delay_alu instid0(SALU_CYCLE_1)
	s_or_b32 exec_lo, exec_lo, s4
.LBB11_10:
	s_delay_alu instid0(SALU_CYCLE_1) | instskip(SKIP_2) | instid1(VALU_DEP_2)
	s_or_b32 exec_lo, exec_lo, s9
	v_and_b32_e32 v12, 31, v0
	v_cmp_gt_u32_e32 vcc_lo, 32, v0
	v_lshlrev_b32_e32 v5, 4, v12
	s_and_saveexec_b32 s0, vcc_lo
	s_cbranch_execz .LBB11_12
; %bb.11:
	v_mov_b64_e32 v[6:7], 0
	v_mov_b32_e32 v1, 0
	ds_store_b64 v5, v[6:7]
	ds_store_b32 v5, v1 offset:8
.LBB11_12:
	s_or_b32 exec_lo, exec_lo, s0
	v_mbcnt_lo_u32_b32 v11, -1, 0
	s_wait_loadcnt 0x0
	v_mov_b32_e32 v13, v4
	s_mov_b32 s2, exec_lo
	s_wait_dscnt 0x0
	s_barrier_signal -1
	v_lshl_or_b32 v1, v11, 2, 64
	s_barrier_wait -1
	ds_bpermute_b32 v6, v1, v2
	ds_bpermute_b32 v7, v1, v3
	;; [unrolled: 1-line block ×3, first 2 shown]
	s_wait_dscnt 0x1
	v_cmpx_ne_u64_e32 0, v[6:7]
	s_cbranch_execz .LBB11_16
; %bb.13:
	v_cmp_ne_u64_e64 s0, 0, v[2:3]
	s_wait_dscnt 0x0
	v_cmp_ngt_f32_e64 s1, v4, v8
	v_mov_b32_e32 v13, v8
	s_and_b32 s0, s0, s1
	s_delay_alu instid0(SALU_CYCLE_1)
	s_and_saveexec_b32 s1, s0
	s_cbranch_execz .LBB11_15
; %bb.14:
	v_min_i64 v[6:7], v[6:7], v[2:3]
	v_cmp_eq_f32_e64 s0, v4, v8
	v_dual_mov_b32 v13, v4 :: v_dual_mov_b32 v8, v4
	s_delay_alu instid0(VALU_DEP_2)
	v_dual_cndmask_b32 v6, v2, v6, s0 :: v_dual_cndmask_b32 v7, v3, v7, s0
.LBB11_15:
	s_or_b32 exec_lo, exec_lo, s1
	s_delay_alu instid0(VALU_DEP_1) | instskip(NEXT) | instid1(VALU_DEP_3)
	v_mov_b64_e32 v[2:3], v[6:7]
	v_mov_b32_e32 v4, v8
.LBB11_16:
	s_or_b32 exec_lo, exec_lo, s2
	v_cmp_gt_u32_e64 s0, 24, v11
	s_mov_b32 s2, exec_lo
	v_cndmask_b32_e64 v6, 0, 8, s0
	s_wait_dscnt 0x0
	s_delay_alu instid0(VALU_DEP_1)
	v_add_lshl_u32 v8, v6, v11, 2
	ds_bpermute_b32 v6, v8, v2
	ds_bpermute_b32 v7, v8, v3
	ds_bpermute_b32 v9, v8, v4
	s_wait_dscnt 0x1
	v_cmpx_ne_u64_e32 0, v[6:7]
	s_cbranch_execz .LBB11_20
; %bb.17:
	v_cmp_ne_u64_e64 s0, 0, v[2:3]
	s_wait_dscnt 0x0
	v_cmp_ngt_f32_e64 s1, v13, v9
	v_mov_b32_e32 v10, v9
	s_and_b32 s0, s0, s1
	s_delay_alu instid0(SALU_CYCLE_1)
	s_and_saveexec_b32 s1, s0
	s_cbranch_execz .LBB11_19
; %bb.18:
	v_min_i64 v[6:7], v[6:7], v[2:3]
	v_cmp_eq_f32_e64 s0, v13, v9
	v_dual_mov_b32 v10, v13 :: v_dual_mov_b32 v9, v4
	s_delay_alu instid0(VALU_DEP_2)
	v_dual_cndmask_b32 v6, v2, v6, s0 :: v_dual_cndmask_b32 v7, v3, v7, s0
.LBB11_19:
	s_or_b32 exec_lo, exec_lo, s1
	s_delay_alu instid0(VALU_DEP_1) | instskip(NEXT) | instid1(VALU_DEP_2)
	v_mov_b64_e32 v[2:3], v[6:7]
	v_dual_mov_b32 v4, v9 :: v_dual_mov_b32 v13, v10
.LBB11_20:
	s_or_b32 exec_lo, exec_lo, s2
	v_cmp_gt_u32_e64 s0, 28, v11
	s_mov_b32 s2, exec_lo
	v_cndmask_b32_e64 v6, 0, 4, s0
	s_wait_dscnt 0x0
	s_delay_alu instid0(VALU_DEP_1)
	v_add_lshl_u32 v9, v6, v11, 2
	ds_bpermute_b32 v6, v9, v2
	ds_bpermute_b32 v7, v9, v3
	ds_bpermute_b32 v10, v9, v4
	s_wait_dscnt 0x1
	v_cmpx_ne_u64_e32 0, v[6:7]
	s_cbranch_execz .LBB11_24
; %bb.21:
	v_cmp_ne_u64_e64 s0, 0, v[2:3]
	s_wait_dscnt 0x0
	v_cmp_ngt_f32_e64 s1, v13, v10
	v_mov_b32_e32 v14, v10
	s_and_b32 s0, s0, s1
	s_delay_alu instid0(SALU_CYCLE_1)
	s_and_saveexec_b32 s1, s0
	s_cbranch_execz .LBB11_23
; %bb.22:
	v_min_i64 v[6:7], v[6:7], v[2:3]
	v_cmp_eq_f32_e64 s0, v13, v10
	v_dual_mov_b32 v14, v13 :: v_dual_mov_b32 v10, v4
	s_delay_alu instid0(VALU_DEP_2)
	v_dual_cndmask_b32 v6, v2, v6, s0 :: v_dual_cndmask_b32 v7, v3, v7, s0
.LBB11_23:
	s_or_b32 exec_lo, exec_lo, s1
	s_delay_alu instid0(VALU_DEP_1) | instskip(NEXT) | instid1(VALU_DEP_2)
	v_mov_b64_e32 v[2:3], v[6:7]
	v_dual_mov_b32 v4, v10 :: v_dual_mov_b32 v13, v14
.LBB11_24:
	;; [unrolled: 34-line block ×3, first 2 shown]
	s_or_b32 exec_lo, exec_lo, s2
	v_cmp_ne_u32_e64 s0, 31, v11
	s_mov_b32 s3, exec_lo
	v_add_co_ci_u32_e64 v6, null, 0, v11, s0
	s_delay_alu instid0(VALU_DEP_1)
	v_lshlrev_b32_e32 v11, 2, v6
	ds_bpermute_b32 v6, v11, v2
	ds_bpermute_b32 v7, v11, v3
	;; [unrolled: 1-line block ×3, first 2 shown]
	s_wait_dscnt 0x1
	v_cmpx_ne_u64_e32 0, v[6:7]
	s_cbranch_execz .LBB11_30
; %bb.29:
	v_min_i64 v[14:15], v[6:7], v[2:3]
	s_wait_dscnt 0x0
	v_cmp_eq_f32_e64 s0, v13, v4
	v_cmp_eq_u64_e64 s1, 0, v[2:3]
	v_cmp_gt_f32_e64 s2, v13, v4
	s_delay_alu instid0(VALU_DEP_3)
	v_dual_cndmask_b32 v2, v2, v14, s0 :: v_dual_cndmask_b32 v3, v3, v15, s0
	s_or_b32 s0, s1, s2
	s_delay_alu instid0(VALU_DEP_1) | instid1(SALU_CYCLE_1)
	v_dual_cndmask_b32 v13, v13, v4, s0 :: v_dual_cndmask_b32 v2, v2, v6, s0
	s_delay_alu instid0(VALU_DEP_2)
	v_cndmask_b32_e64 v3, v3, v7, s0
.LBB11_30:
	s_or_b32 exec_lo, exec_lo, s3
	s_delay_alu instid0(SALU_CYCLE_1)
	s_mov_b32 s1, exec_lo
	v_cmpx_eq_u32_e32 0, v12
	s_cbranch_execz .LBB11_32
; %bb.31:
	s_wait_dscnt 0x0
	v_lshrrev_b32_e32 v4, 1, v0
	s_delay_alu instid0(VALU_DEP_1)
	v_and_b32_e32 v4, 0x1f0, v4
	ds_store_b64 v4, v[2:3]
	ds_store_b32 v4, v13 offset:8
.LBB11_32:
	s_or_b32 exec_lo, exec_lo, s1
	v_mov_b64_e32 v[2:3], 0
	v_mov_b32_e32 v6, 0
	s_wait_dscnt 0x0
	s_barrier_signal -1
	s_barrier_wait -1
	s_and_saveexec_b32 s0, vcc_lo
	s_cbranch_execz .LBB11_34
; %bb.33:
	ds_load_b64 v[2:3], v5
	ds_load_b32 v6, v5 offset:8
.LBB11_34:
	s_or_b32 exec_lo, exec_lo, s0
	s_and_saveexec_b32 s2, vcc_lo
	s_cbranch_execz .LBB11_54
; %bb.35:
	s_wait_dscnt 0x1
	ds_bpermute_b32 v4, v1, v2
	ds_bpermute_b32 v5, v1, v3
	s_wait_dscnt 0x2
	ds_bpermute_b32 v7, v1, v6
	v_mov_b32_e32 v1, v6
	s_mov_b32 s1, exec_lo
	s_wait_dscnt 0x1
	v_cmpx_ne_u64_e32 0, v[4:5]
	s_cbranch_execz .LBB11_39
; %bb.36:
	v_cmp_ne_u64_e32 vcc_lo, 0, v[2:3]
	s_wait_dscnt 0x0
	v_cmp_ngt_f32_e64 s0, v6, v7
	s_and_b32 s3, vcc_lo, s0
	s_delay_alu instid0(SALU_CYCLE_1)
	s_and_saveexec_b32 s0, s3
	s_cbranch_execz .LBB11_38
; %bb.37:
	v_min_i64 v[4:5], v[4:5], v[2:3]
	v_cmp_eq_f32_e32 vcc_lo, v6, v7
	s_delay_alu instid0(VALU_DEP_2) | instskip(NEXT) | instid1(VALU_DEP_3)
	v_dual_mov_b32 v7, v6 :: v_dual_cndmask_b32 v5, v3, v5, vcc_lo
	v_cndmask_b32_e32 v4, v2, v4, vcc_lo
.LBB11_38:
	s_or_b32 exec_lo, exec_lo, s0
	s_delay_alu instid0(VALU_DEP_1) | instskip(NEXT) | instid1(VALU_DEP_3)
	v_mov_b64_e32 v[2:3], v[4:5]
	v_dual_mov_b32 v6, v7 :: v_dual_mov_b32 v1, v7
.LBB11_39:
	s_or_b32 exec_lo, exec_lo, s1
	ds_bpermute_b32 v4, v8, v2
	ds_bpermute_b32 v5, v8, v3
	s_wait_dscnt 0x2
	ds_bpermute_b32 v7, v8, v6
	s_mov_b32 s1, exec_lo
	s_wait_dscnt 0x1
	v_cmpx_ne_u64_e32 0, v[4:5]
	s_cbranch_execz .LBB11_43
; %bb.40:
	v_cmp_ne_u64_e32 vcc_lo, 0, v[2:3]
	s_wait_dscnt 0x0
	v_cmp_ngt_f32_e64 s0, v1, v7
	v_mov_b32_e32 v8, v7
	s_and_b32 s3, vcc_lo, s0
	s_delay_alu instid0(SALU_CYCLE_1)
	s_and_saveexec_b32 s0, s3
	s_cbranch_execz .LBB11_42
; %bb.41:
	v_min_i64 v[4:5], v[4:5], v[2:3]
	v_cmp_eq_f32_e32 vcc_lo, v1, v7
	v_dual_mov_b32 v8, v1 :: v_dual_mov_b32 v7, v6
	s_delay_alu instid0(VALU_DEP_3)
	v_dual_cndmask_b32 v5, v3, v5 :: v_dual_cndmask_b32 v4, v2, v4
.LBB11_42:
	s_or_b32 exec_lo, exec_lo, s0
	s_delay_alu instid0(VALU_DEP_1) | instskip(NEXT) | instid1(VALU_DEP_2)
	v_mov_b64_e32 v[2:3], v[4:5]
	v_dual_mov_b32 v6, v7 :: v_dual_mov_b32 v1, v8
.LBB11_43:
	s_or_b32 exec_lo, exec_lo, s1
	ds_bpermute_b32 v4, v9, v2
	ds_bpermute_b32 v5, v9, v3
	s_wait_dscnt 0x2
	ds_bpermute_b32 v7, v9, v6
	s_mov_b32 s1, exec_lo
	s_wait_dscnt 0x1
	v_cmpx_ne_u64_e32 0, v[4:5]
	s_cbranch_execz .LBB11_47
; %bb.44:
	v_cmp_ne_u64_e32 vcc_lo, 0, v[2:3]
	s_wait_dscnt 0x0
	v_cmp_ngt_f32_e64 s0, v1, v7
	v_mov_b32_e32 v8, v7
	s_and_b32 s3, vcc_lo, s0
	s_delay_alu instid0(SALU_CYCLE_1)
	s_and_saveexec_b32 s0, s3
	s_cbranch_execz .LBB11_46
; %bb.45:
	v_min_i64 v[4:5], v[4:5], v[2:3]
	v_cmp_eq_f32_e32 vcc_lo, v1, v7
	v_dual_mov_b32 v8, v1 :: v_dual_mov_b32 v7, v6
	s_delay_alu instid0(VALU_DEP_3)
	v_dual_cndmask_b32 v5, v3, v5 :: v_dual_cndmask_b32 v4, v2, v4
.LBB11_46:
	s_or_b32 exec_lo, exec_lo, s0
	s_delay_alu instid0(VALU_DEP_1) | instskip(NEXT) | instid1(VALU_DEP_2)
	v_mov_b64_e32 v[2:3], v[4:5]
	v_dual_mov_b32 v6, v7 :: v_dual_mov_b32 v1, v8
.LBB11_47:
	;; [unrolled: 30-line block ×3, first 2 shown]
	s_or_b32 exec_lo, exec_lo, s1
	ds_bpermute_b32 v4, v11, v2
	ds_bpermute_b32 v5, v11, v3
	ds_bpermute_b32 v6, v11, v6
	s_mov_b32 s3, exec_lo
	s_wait_dscnt 0x1
	v_cmpx_ne_u64_e32 0, v[4:5]
	s_cbranch_execz .LBB11_53
; %bb.52:
	v_min_i64 v[8:9], v[4:5], v[2:3]
	s_wait_dscnt 0x0
	v_cmp_eq_f32_e32 vcc_lo, v1, v6
	v_cmp_eq_u64_e64 s0, 0, v[2:3]
	v_cmp_gt_f32_e64 s1, v1, v6
	s_delay_alu instid0(VALU_DEP_4) | instskip(SKIP_1) | instid1(VALU_DEP_1)
	v_dual_cndmask_b32 v1, v2, v8 :: v_dual_cndmask_b32 v2, v3, v9
	s_or_b32 vcc_lo, s0, s1
	v_dual_cndmask_b32 v3, v2, v5 :: v_dual_cndmask_b32 v2, v1, v4
.LBB11_53:
	s_or_b32 exec_lo, exec_lo, s3
.LBB11_54:
	s_delay_alu instid0(SALU_CYCLE_1) | instskip(NEXT) | instid1(SALU_CYCLE_1)
	s_or_b32 exec_lo, exec_lo, s2
	s_mov_b32 s0, exec_lo
	v_cmpx_eq_u32_e32 0, v0
	s_cbranch_execz .LBB11_56
; %bb.55:
	s_bfe_u32 s0, ttmp6, 0x4000c
	s_and_b32 s1, ttmp6, 15
	s_add_co_i32 s0, s0, 1
	s_delay_alu instid0(SALU_CYCLE_1) | instskip(NEXT) | instid1(SALU_CYCLE_1)
	s_mul_i32 s0, ttmp9, s0
	s_add_co_i32 s1, s1, s0
	s_cmp_eq_u32 s8, 0
	s_cselect_b32 s0, ttmp9, s1
	s_delay_alu instid0(SALU_CYCLE_1)
	v_mov_b32_e32 v0, s0
	s_wait_dscnt 0x1
	global_store_b64 v0, v[2:3], s[6:7] scale_offset
.LBB11_56:
	s_endpgm
	.section	.rodata,"a",@progbits
	.p2align	6, 0x0
	.amdhsa_kernel _ZL35rocblas_iamax_iamin_kernel_part2_64ILi1024E22rocblas_reduce_amin_6424rocblas_index_64_value_tIfElEviPT1_PT2_
		.amdhsa_group_segment_fixed_size 512
		.amdhsa_private_segment_fixed_size 0
		.amdhsa_kernarg_size 24
		.amdhsa_user_sgpr_count 2
		.amdhsa_user_sgpr_dispatch_ptr 0
		.amdhsa_user_sgpr_queue_ptr 0
		.amdhsa_user_sgpr_kernarg_segment_ptr 1
		.amdhsa_user_sgpr_dispatch_id 0
		.amdhsa_user_sgpr_kernarg_preload_length 0
		.amdhsa_user_sgpr_kernarg_preload_offset 0
		.amdhsa_user_sgpr_private_segment_size 0
		.amdhsa_wavefront_size32 1
		.amdhsa_uses_dynamic_stack 0
		.amdhsa_enable_private_segment 0
		.amdhsa_system_sgpr_workgroup_id_x 1
		.amdhsa_system_sgpr_workgroup_id_y 0
		.amdhsa_system_sgpr_workgroup_id_z 0
		.amdhsa_system_sgpr_workgroup_info 0
		.amdhsa_system_vgpr_workitem_id 0
		.amdhsa_next_free_vgpr 16
		.amdhsa_next_free_sgpr 10
		.amdhsa_named_barrier_count 0
		.amdhsa_reserve_vcc 1
		.amdhsa_float_round_mode_32 0
		.amdhsa_float_round_mode_16_64 0
		.amdhsa_float_denorm_mode_32 3
		.amdhsa_float_denorm_mode_16_64 3
		.amdhsa_fp16_overflow 0
		.amdhsa_memory_ordered 1
		.amdhsa_forward_progress 1
		.amdhsa_inst_pref_size 17
		.amdhsa_round_robin_scheduling 0
		.amdhsa_exception_fp_ieee_invalid_op 0
		.amdhsa_exception_fp_denorm_src 0
		.amdhsa_exception_fp_ieee_div_zero 0
		.amdhsa_exception_fp_ieee_overflow 0
		.amdhsa_exception_fp_ieee_underflow 0
		.amdhsa_exception_fp_ieee_inexact 0
		.amdhsa_exception_int_div_zero 0
	.end_amdhsa_kernel
	.section	.text._ZL35rocblas_iamax_iamin_kernel_part2_64ILi1024E22rocblas_reduce_amin_6424rocblas_index_64_value_tIfElEviPT1_PT2_,"axG",@progbits,_ZL35rocblas_iamax_iamin_kernel_part2_64ILi1024E22rocblas_reduce_amin_6424rocblas_index_64_value_tIfElEviPT1_PT2_,comdat
.Lfunc_end11:
	.size	_ZL35rocblas_iamax_iamin_kernel_part2_64ILi1024E22rocblas_reduce_amin_6424rocblas_index_64_value_tIfElEviPT1_PT2_, .Lfunc_end11-_ZL35rocblas_iamax_iamin_kernel_part2_64ILi1024E22rocblas_reduce_amin_6424rocblas_index_64_value_tIfElEviPT1_PT2_
                                        ; -- End function
	.set _ZL35rocblas_iamax_iamin_kernel_part2_64ILi1024E22rocblas_reduce_amin_6424rocblas_index_64_value_tIfElEviPT1_PT2_.num_vgpr, 16
	.set _ZL35rocblas_iamax_iamin_kernel_part2_64ILi1024E22rocblas_reduce_amin_6424rocblas_index_64_value_tIfElEviPT1_PT2_.num_agpr, 0
	.set _ZL35rocblas_iamax_iamin_kernel_part2_64ILi1024E22rocblas_reduce_amin_6424rocblas_index_64_value_tIfElEviPT1_PT2_.numbered_sgpr, 10
	.set _ZL35rocblas_iamax_iamin_kernel_part2_64ILi1024E22rocblas_reduce_amin_6424rocblas_index_64_value_tIfElEviPT1_PT2_.num_named_barrier, 0
	.set _ZL35rocblas_iamax_iamin_kernel_part2_64ILi1024E22rocblas_reduce_amin_6424rocblas_index_64_value_tIfElEviPT1_PT2_.private_seg_size, 0
	.set _ZL35rocblas_iamax_iamin_kernel_part2_64ILi1024E22rocblas_reduce_amin_6424rocblas_index_64_value_tIfElEviPT1_PT2_.uses_vcc, 1
	.set _ZL35rocblas_iamax_iamin_kernel_part2_64ILi1024E22rocblas_reduce_amin_6424rocblas_index_64_value_tIfElEviPT1_PT2_.uses_flat_scratch, 0
	.set _ZL35rocblas_iamax_iamin_kernel_part2_64ILi1024E22rocblas_reduce_amin_6424rocblas_index_64_value_tIfElEviPT1_PT2_.has_dyn_sized_stack, 0
	.set _ZL35rocblas_iamax_iamin_kernel_part2_64ILi1024E22rocblas_reduce_amin_6424rocblas_index_64_value_tIfElEviPT1_PT2_.has_recursion, 0
	.set _ZL35rocblas_iamax_iamin_kernel_part2_64ILi1024E22rocblas_reduce_amin_6424rocblas_index_64_value_tIfElEviPT1_PT2_.has_indirect_call, 0
	.section	.AMDGPU.csdata,"",@progbits
; Kernel info:
; codeLenInByte = 2112
; TotalNumSgprs: 12
; NumVgprs: 16
; ScratchSize: 0
; MemoryBound: 0
; FloatMode: 240
; IeeeMode: 1
; LDSByteSize: 512 bytes/workgroup (compile time only)
; SGPRBlocks: 0
; VGPRBlocks: 0
; NumSGPRsForWavesPerEU: 12
; NumVGPRsForWavesPerEU: 16
; NamedBarCnt: 0
; Occupancy: 16
; WaveLimiterHint : 0
; COMPUTE_PGM_RSRC2:SCRATCH_EN: 0
; COMPUTE_PGM_RSRC2:USER_SGPR: 2
; COMPUTE_PGM_RSRC2:TRAP_HANDLER: 0
; COMPUTE_PGM_RSRC2:TGID_X_EN: 1
; COMPUTE_PGM_RSRC2:TGID_Y_EN: 0
; COMPUTE_PGM_RSRC2:TGID_Z_EN: 0
; COMPUTE_PGM_RSRC2:TIDIG_COMP_CNT: 0
	.section	.text._ZL35rocblas_iamax_iamin_kernel_part1_64ILi1024E26rocblas_fetch_amax_amin_64IdE22rocblas_reduce_amin_64PKd24rocblas_index_64_value_tIdEEvlT2_lllPT3_,"axG",@progbits,_ZL35rocblas_iamax_iamin_kernel_part1_64ILi1024E26rocblas_fetch_amax_amin_64IdE22rocblas_reduce_amin_64PKd24rocblas_index_64_value_tIdEEvlT2_lllPT3_,comdat
	.globl	_ZL35rocblas_iamax_iamin_kernel_part1_64ILi1024E26rocblas_fetch_amax_amin_64IdE22rocblas_reduce_amin_64PKd24rocblas_index_64_value_tIdEEvlT2_lllPT3_ ; -- Begin function _ZL35rocblas_iamax_iamin_kernel_part1_64ILi1024E26rocblas_fetch_amax_amin_64IdE22rocblas_reduce_amin_64PKd24rocblas_index_64_value_tIdEEvlT2_lllPT3_
	.p2align	8
	.type	_ZL35rocblas_iamax_iamin_kernel_part1_64ILi1024E26rocblas_fetch_amax_amin_64IdE22rocblas_reduce_amin_64PKd24rocblas_index_64_value_tIdEEvlT2_lllPT3_,@function
_ZL35rocblas_iamax_iamin_kernel_part1_64ILi1024E26rocblas_fetch_amax_amin_64IdE22rocblas_reduce_amin_64PKd24rocblas_index_64_value_tIdEEvlT2_lllPT3_: ; @_ZL35rocblas_iamax_iamin_kernel_part1_64ILi1024E26rocblas_fetch_amax_amin_64IdE22rocblas_reduce_amin_64PKd24rocblas_index_64_value_tIdEEvlT2_lllPT3_
; %bb.0:
	s_clause 0x1
	s_load_b256 s[8:15], s[0:1], 0x0
	s_load_b128 s[4:7], s[0:1], 0x20
	s_bfe_u32 s2, ttmp6, 0x40014
	s_lshr_b32 s3, ttmp7, 16
	s_add_co_i32 s2, s2, 1
	s_bfe_u32 s17, ttmp6, 0x4000c
	s_mul_i32 s2, s3, s2
	s_bfe_u32 s16, ttmp6, 0x40008
	s_add_co_i32 s17, s17, 1
	s_add_co_i32 s16, s16, s2
	s_and_b32 s2, ttmp6, 15
	s_mul_i32 s17, ttmp9, s17
	s_getreg_b32 s19, hwreg(HW_REG_IB_STS2, 6, 4)
	s_add_co_i32 s2, s2, s17
	s_cmp_eq_u32 s19, 0
	s_mov_b32 s17, 0
	s_cselect_b32 s20, ttmp9, s2
	s_cselect_b32 s16, s3, s16
	s_wait_kmcnt 0x0
	v_cmp_lt_i64_e64 s18, s[8:9], 1
	s_and_b32 vcc_lo, exec_lo, s18
	s_cbranch_vccnz .LBB12_53
; %bb.1:
	v_dual_mov_b32 v2, 0 :: v_dual_bitop2_b32 v3, 31, v0 bitop3:0x40
	v_lshl_or_b32 v18, s20, 10, v0
	v_mbcnt_lo_u32_b32 v6, -1, 0
	s_load_b32 s18, s[0:1], 0x30
	s_delay_alu instid0(VALU_DEP_3) | instskip(SKIP_1) | instid1(VALU_DEP_2)
	v_dual_mov_b32 v19, v2 :: v_dual_lshlrev_b32 v1, 4, v3
	s_mul_u64 s[4:5], s[4:5], s[16:17]
	v_cmp_gt_u32_e32 vcc_lo, 24, v6
	s_lshl_b64 s[12:13], s[12:13], 3
	s_delay_alu instid0(VALU_DEP_2)
	v_mul_u64_e32 v[4:5], s[14:15], v[18:19]
	s_lshl_b64 s[4:5], s[4:5], 3
	s_add_nc_u64 s[10:11], s[10:11], s[12:13]
	v_cndmask_b32_e64 v7, 0, 8, vcc_lo
	v_cmp_gt_u32_e32 vcc_lo, 28, v6
	v_lshl_or_b32 v24, v6, 2, 64
	s_add_nc_u64 s[4:5], s[10:11], s[4:5]
	s_mov_b32 s19, s17
	v_add_lshl_u32 v25, v7, v6, 2
	v_cndmask_b32_e64 v8, 0, 4, vcc_lo
	v_cmp_gt_u32_e32 vcc_lo, 30, v6
	v_cmp_gt_u32_e64 s2, 32, v0
	v_cmp_eq_u32_e64 s3, 0, v3
	s_mov_b64 s[12:13], 0
	v_add_lshl_u32 v26, v8, v6, 2
	v_cndmask_b32_e64 v9, 0, 2, vcc_lo
	v_cmp_ne_u32_e32 vcc_lo, 31, v6
	s_wait_kmcnt 0x0
	s_lshl_b32 s18, s18, 10
                                        ; implicit-def: $vgpr12_vgpr13
	s_delay_alu instid0(SALU_CYCLE_1)
	s_mul_u64 s[10:11], s[14:15], s[18:19]
	v_add_lshl_u32 v27, v9, v6, 2
	v_add_co_ci_u32_e64 v10, null, 0, v6, vcc_lo
	v_lshrrev_b32_e32 v7, 1, v0
	v_cmp_ne_u32_e32 vcc_lo, 0, v0
	s_lshl_b64 s[10:11], s[10:11], 3
	s_delay_alu instid0(VALU_DEP_3) | instskip(NEXT) | instid1(VALU_DEP_3)
	v_lshlrev_b32_e32 v28, 2, v10
	v_and_b32_e32 v29, 0x1f0, v7
	v_mov_b64_e32 v[6:7], 0
	s_xor_b32 s14, vcc_lo, -1
	v_lshl_add_u64 v[20:21], v[4:5], 3, s[4:5]
	s_branch .LBB12_4
.LBB12_2:                               ;   in Loop: Header=BB12_4 Depth=1
	s_or_b32 exec_lo, exec_lo, s4
	s_delay_alu instid0(VALU_DEP_2) | instskip(NEXT) | instid1(VALU_DEP_2)
	v_mov_b64_e32 v[6:7], v[10:11]
	v_mov_b64_e32 v[8:9], v[4:5]
.LBB12_3:                               ;   in Loop: Header=BB12_4 Depth=1
	s_or_b32 exec_lo, exec_lo, s5
	s_add_nc_u64 s[12:13], s[12:13], s[18:19]
	v_add_nc_u64_e32 v[20:21], s[10:11], v[20:21]
	v_cmp_ge_i64_e64 s4, s[12:13], s[8:9]
	s_and_b32 vcc_lo, exec_lo, s4
	s_cbranch_vccnz .LBB12_54
.LBB12_4:                               ; =>This Inner Loop Header: Depth=1
	v_add_nc_u64_e32 v[4:5], s[12:13], v[18:19]
	v_mov_b64_e32 v[14:15], 0
	s_mov_b32 s4, exec_lo
	s_delay_alu instid0(VALU_DEP_2)
	v_cmpx_gt_i64_e64 s[8:9], v[4:5]
	s_cbranch_execz .LBB12_6
; %bb.5:                                ;   in Loop: Header=BB12_4 Depth=1
	global_load_b64 v[12:13], v[20:21], off
	v_add_nc_u64_e32 v[14:15], 1, v[4:5]
	s_wait_loadcnt 0x0
	v_cmp_gt_f64_e32 vcc_lo, 0, v[12:13]
	v_xor_b32_e32 v3, 0x80000000, v13
	s_delay_alu instid0(VALU_DEP_1)
	v_cndmask_b32_e32 v13, v13, v3, vcc_lo
.LBB12_6:                               ;   in Loop: Header=BB12_4 Depth=1
	s_or_b32 exec_lo, exec_lo, s4
	s_and_saveexec_b32 s4, s2
; %bb.7:                                ;   in Loop: Header=BB12_4 Depth=1
	v_dual_mov_b32 v3, v2 :: v_dual_mov_b32 v4, v2
	v_mov_b32_e32 v5, v2
	ds_store_b128 v1, v[2:5]
; %bb.8:                                ;   in Loop: Header=BB12_4 Depth=1
	s_or_b32 exec_lo, exec_lo, s4
	ds_bpermute_b32 v4, v24, v14
	ds_bpermute_b32 v5, v24, v15
	;; [unrolled: 1-line block ×4, first 2 shown]
	v_mov_b64_e32 v[16:17], v[12:13]
	s_mov_b32 s5, exec_lo
	s_wait_dscnt 0x0
	s_barrier_signal -1
	s_barrier_wait -1
	v_cmpx_ne_u64_e32 0, v[4:5]
	s_cbranch_execz .LBB12_12
; %bb.9:                                ;   in Loop: Header=BB12_4 Depth=1
	v_cmp_ngt_f64_e32 vcc_lo, v[12:13], v[10:11]
	v_cmp_ne_u64_e64 s4, 0, v[14:15]
	v_mov_b64_e32 v[16:17], v[10:11]
	s_and_b32 s15, s4, vcc_lo
	s_delay_alu instid0(SALU_CYCLE_1)
	s_and_saveexec_b32 s4, s15
	s_cbranch_execz .LBB12_11
; %bb.10:                               ;   in Loop: Header=BB12_4 Depth=1
	v_min_i64 v[4:5], v[4:5], v[14:15]
	v_cmp_eq_f64_e32 vcc_lo, v[12:13], v[10:11]
	v_mov_b64_e32 v[16:17], v[12:13]
	v_dual_mov_b32 v10, v12 :: v_dual_mov_b32 v11, v13
	s_delay_alu instid0(VALU_DEP_4)
	v_dual_cndmask_b32 v4, v14, v4 :: v_dual_cndmask_b32 v5, v15, v5
.LBB12_11:                              ;   in Loop: Header=BB12_4 Depth=1
	s_or_b32 exec_lo, exec_lo, s4
	s_delay_alu instid0(VALU_DEP_1) | instskip(NEXT) | instid1(VALU_DEP_3)
	v_mov_b64_e32 v[14:15], v[4:5]
	v_dual_mov_b32 v13, v11 :: v_dual_mov_b32 v12, v10
.LBB12_12:                              ;   in Loop: Header=BB12_4 Depth=1
	s_or_b32 exec_lo, exec_lo, s5
	ds_bpermute_b32 v4, v25, v14
	ds_bpermute_b32 v5, v25, v15
	;; [unrolled: 1-line block ×4, first 2 shown]
	s_mov_b32 s5, exec_lo
	s_wait_dscnt 0x2
	v_cmpx_ne_u64_e32 0, v[4:5]
	s_cbranch_execz .LBB12_16
; %bb.13:                               ;   in Loop: Header=BB12_4 Depth=1
	s_wait_dscnt 0x0
	v_cmp_ngt_f64_e32 vcc_lo, v[16:17], v[10:11]
	v_cmp_ne_u64_e64 s4, 0, v[14:15]
	v_mov_b64_e32 v[22:23], v[10:11]
	s_and_b32 s15, s4, vcc_lo
	s_delay_alu instid0(SALU_CYCLE_1)
	s_and_saveexec_b32 s4, s15
	s_cbranch_execz .LBB12_15
; %bb.14:                               ;   in Loop: Header=BB12_4 Depth=1
	v_min_i64 v[4:5], v[4:5], v[14:15]
	v_cmp_eq_f64_e32 vcc_lo, v[16:17], v[10:11]
	v_mov_b64_e32 v[22:23], v[16:17]
	v_dual_mov_b32 v10, v12 :: v_dual_mov_b32 v11, v13
	s_delay_alu instid0(VALU_DEP_4)
	v_dual_cndmask_b32 v4, v14, v4 :: v_dual_cndmask_b32 v5, v15, v5
.LBB12_15:                              ;   in Loop: Header=BB12_4 Depth=1
	s_or_b32 exec_lo, exec_lo, s4
	s_delay_alu instid0(VALU_DEP_1) | instskip(NEXT) | instid1(VALU_DEP_2)
	v_mov_b64_e32 v[14:15], v[4:5]
	v_mov_b64_e32 v[16:17], v[22:23]
	v_dual_mov_b32 v13, v11 :: v_dual_mov_b32 v12, v10
.LBB12_16:                              ;   in Loop: Header=BB12_4 Depth=1
	s_or_b32 exec_lo, exec_lo, s5
	ds_bpermute_b32 v4, v26, v14
	ds_bpermute_b32 v5, v26, v15
	s_wait_dscnt 0x3
	ds_bpermute_b32 v10, v26, v12
	s_wait_dscnt 0x3
	ds_bpermute_b32 v11, v26, v13
	s_mov_b32 s5, exec_lo
	s_wait_dscnt 0x2
	v_cmpx_ne_u64_e32 0, v[4:5]
	s_cbranch_execz .LBB12_20
; %bb.17:                               ;   in Loop: Header=BB12_4 Depth=1
	s_wait_dscnt 0x0
	v_cmp_ngt_f64_e32 vcc_lo, v[16:17], v[10:11]
	v_cmp_ne_u64_e64 s4, 0, v[14:15]
	v_mov_b64_e32 v[22:23], v[10:11]
	s_and_b32 s15, s4, vcc_lo
	s_delay_alu instid0(SALU_CYCLE_1)
	s_and_saveexec_b32 s4, s15
	s_cbranch_execz .LBB12_19
; %bb.18:                               ;   in Loop: Header=BB12_4 Depth=1
	v_min_i64 v[4:5], v[4:5], v[14:15]
	v_cmp_eq_f64_e32 vcc_lo, v[16:17], v[10:11]
	v_mov_b64_e32 v[22:23], v[16:17]
	v_dual_mov_b32 v10, v12 :: v_dual_mov_b32 v11, v13
	s_delay_alu instid0(VALU_DEP_4)
	v_dual_cndmask_b32 v4, v14, v4 :: v_dual_cndmask_b32 v5, v15, v5
.LBB12_19:                              ;   in Loop: Header=BB12_4 Depth=1
	s_or_b32 exec_lo, exec_lo, s4
	s_delay_alu instid0(VALU_DEP_1) | instskip(NEXT) | instid1(VALU_DEP_2)
	v_mov_b64_e32 v[14:15], v[4:5]
	v_mov_b64_e32 v[16:17], v[22:23]
	v_dual_mov_b32 v13, v11 :: v_dual_mov_b32 v12, v10
.LBB12_20:                              ;   in Loop: Header=BB12_4 Depth=1
	s_or_b32 exec_lo, exec_lo, s5
	ds_bpermute_b32 v4, v27, v14
	ds_bpermute_b32 v5, v27, v15
	s_wait_dscnt 0x3
	ds_bpermute_b32 v10, v27, v12
	s_wait_dscnt 0x3
	ds_bpermute_b32 v11, v27, v13
	s_mov_b32 s5, exec_lo
	s_wait_dscnt 0x2
	v_cmpx_ne_u64_e32 0, v[4:5]
	s_cbranch_execz .LBB12_24
; %bb.21:                               ;   in Loop: Header=BB12_4 Depth=1
	s_wait_dscnt 0x0
	v_cmp_ngt_f64_e32 vcc_lo, v[16:17], v[10:11]
	v_cmp_ne_u64_e64 s4, 0, v[14:15]
	v_mov_b64_e32 v[22:23], v[10:11]
	s_and_b32 s15, s4, vcc_lo
	s_delay_alu instid0(SALU_CYCLE_1)
	s_and_saveexec_b32 s4, s15
	s_cbranch_execz .LBB12_23
; %bb.22:                               ;   in Loop: Header=BB12_4 Depth=1
	v_min_i64 v[4:5], v[4:5], v[14:15]
	v_cmp_eq_f64_e32 vcc_lo, v[16:17], v[10:11]
	v_mov_b64_e32 v[22:23], v[16:17]
	v_dual_mov_b32 v10, v12 :: v_dual_mov_b32 v11, v13
	s_delay_alu instid0(VALU_DEP_4)
	v_dual_cndmask_b32 v4, v14, v4 :: v_dual_cndmask_b32 v5, v15, v5
.LBB12_23:                              ;   in Loop: Header=BB12_4 Depth=1
	s_or_b32 exec_lo, exec_lo, s4
	s_delay_alu instid0(VALU_DEP_1) | instskip(NEXT) | instid1(VALU_DEP_2)
	v_mov_b64_e32 v[14:15], v[4:5]
	v_mov_b64_e32 v[16:17], v[22:23]
	v_dual_mov_b32 v13, v11 :: v_dual_mov_b32 v12, v10
.LBB12_24:                              ;   in Loop: Header=BB12_4 Depth=1
	s_or_b32 exec_lo, exec_lo, s5
	s_wait_dscnt 0x1
	ds_bpermute_b32 v10, v28, v14
	s_wait_dscnt 0x1
	ds_bpermute_b32 v11, v28, v15
	ds_bpermute_b32 v4, v28, v12
	;; [unrolled: 1-line block ×3, first 2 shown]
	s_mov_b32 s15, exec_lo
	s_wait_dscnt 0x2
	v_cmpx_ne_u64_e32 0, v[10:11]
	s_cbranch_execz .LBB12_26
; %bb.25:                               ;   in Loop: Header=BB12_4 Depth=1
	v_min_i64 v[22:23], v[10:11], v[14:15]
	s_wait_dscnt 0x0
	v_mov_b32_e32 v5, v12
	v_cmp_eq_u64_e64 s5, 0, v[14:15]
	s_delay_alu instid0(VALU_DEP_2) | instskip(NEXT) | instid1(VALU_DEP_4)
	v_cmp_eq_f64_e32 vcc_lo, v[16:17], v[4:5]
	v_cndmask_b32_e32 v3, v14, v22, vcc_lo
	v_cmp_gt_f64_e64 s4, v[16:17], v[4:5]
	v_cndmask_b32_e32 v5, v15, v23, vcc_lo
	s_or_b32 vcc_lo, s5, s4
	v_dual_cndmask_b32 v14, v3, v10 :: v_dual_cndmask_b32 v17, v17, v12
	s_delay_alu instid0(VALU_DEP_2)
	v_dual_cndmask_b32 v15, v5, v11 :: v_dual_cndmask_b32 v16, v16, v4
.LBB12_26:                              ;   in Loop: Header=BB12_4 Depth=1
	s_or_b32 exec_lo, exec_lo, s15
	s_and_saveexec_b32 s4, s3
; %bb.27:                               ;   in Loop: Header=BB12_4 Depth=1
	ds_store_b128 v29, v[14:17]
; %bb.28:                               ;   in Loop: Header=BB12_4 Depth=1
	s_or_b32 exec_lo, exec_lo, s4
	s_wait_dscnt 0x0
	v_mov_b64_e32 v[12:13], 0
	v_mov_b64_e32 v[10:11], 0
	s_barrier_signal -1
	s_barrier_wait -1
	s_and_saveexec_b32 s4, s2
; %bb.29:                               ;   in Loop: Header=BB12_4 Depth=1
	ds_load_b128 v[10:13], v1
; %bb.30:                               ;   in Loop: Header=BB12_4 Depth=1
	s_or_b32 exec_lo, exec_lo, s4
	s_and_saveexec_b32 s15, s2
	s_cbranch_execz .LBB12_50
; %bb.31:                               ;   in Loop: Header=BB12_4 Depth=1
	s_wait_dscnt 0x0
	ds_bpermute_b32 v14, v24, v10
	ds_bpermute_b32 v15, v24, v11
	;; [unrolled: 1-line block ×4, first 2 shown]
	v_mov_b64_e32 v[4:5], v[12:13]
	s_mov_b32 s5, exec_lo
	s_wait_dscnt 0x2
	v_cmpx_ne_u64_e32 0, v[14:15]
	s_cbranch_execz .LBB12_35
; %bb.32:                               ;   in Loop: Header=BB12_4 Depth=1
	s_wait_dscnt 0x0
	v_cmp_ngt_f64_e32 vcc_lo, v[12:13], v[16:17]
	v_cmp_ne_u64_e64 s4, 0, v[10:11]
	v_mov_b64_e32 v[4:5], v[16:17]
	s_and_b32 s21, s4, vcc_lo
	s_delay_alu instid0(SALU_CYCLE_1)
	s_and_saveexec_b32 s4, s21
	s_cbranch_execz .LBB12_34
; %bb.33:                               ;   in Loop: Header=BB12_4 Depth=1
	v_min_i64 v[14:15], v[14:15], v[10:11]
	v_cmp_eq_f64_e32 vcc_lo, v[12:13], v[16:17]
	v_mov_b64_e32 v[4:5], v[12:13]
	v_dual_mov_b32 v16, v12 :: v_dual_mov_b32 v17, v13
	s_delay_alu instid0(VALU_DEP_4)
	v_dual_cndmask_b32 v14, v10, v14 :: v_dual_cndmask_b32 v15, v11, v15
.LBB12_34:                              ;   in Loop: Header=BB12_4 Depth=1
	s_or_b32 exec_lo, exec_lo, s4
	s_delay_alu instid0(VALU_DEP_1) | instskip(NEXT) | instid1(VALU_DEP_3)
	v_mov_b64_e32 v[10:11], v[14:15]
	v_dual_mov_b32 v13, v17 :: v_dual_mov_b32 v12, v16
.LBB12_35:                              ;   in Loop: Header=BB12_4 Depth=1
	s_or_b32 exec_lo, exec_lo, s5
	ds_bpermute_b32 v14, v25, v10
	ds_bpermute_b32 v15, v25, v11
	s_wait_dscnt 0x3
	ds_bpermute_b32 v16, v25, v12
	s_wait_dscnt 0x3
	ds_bpermute_b32 v17, v25, v13
	s_mov_b32 s5, exec_lo
	s_wait_dscnt 0x2
	v_cmpx_ne_u64_e32 0, v[14:15]
	s_cbranch_execz .LBB12_39
; %bb.36:                               ;   in Loop: Header=BB12_4 Depth=1
	s_wait_dscnt 0x0
	v_cmp_ngt_f64_e32 vcc_lo, v[4:5], v[16:17]
	v_cmp_ne_u64_e64 s4, 0, v[10:11]
	v_mov_b64_e32 v[22:23], v[16:17]
	s_and_b32 s21, s4, vcc_lo
	s_delay_alu instid0(SALU_CYCLE_1)
	s_and_saveexec_b32 s4, s21
	s_cbranch_execz .LBB12_38
; %bb.37:                               ;   in Loop: Header=BB12_4 Depth=1
	v_min_i64 v[14:15], v[14:15], v[10:11]
	v_cmp_eq_f64_e32 vcc_lo, v[4:5], v[16:17]
	v_mov_b64_e32 v[22:23], v[4:5]
	v_dual_mov_b32 v16, v12 :: v_dual_mov_b32 v17, v13
	s_delay_alu instid0(VALU_DEP_4)
	v_dual_cndmask_b32 v14, v10, v14 :: v_dual_cndmask_b32 v15, v11, v15
.LBB12_38:                              ;   in Loop: Header=BB12_4 Depth=1
	s_or_b32 exec_lo, exec_lo, s4
	s_delay_alu instid0(VALU_DEP_1) | instskip(NEXT) | instid1(VALU_DEP_2)
	v_mov_b64_e32 v[10:11], v[14:15]
	v_mov_b64_e32 v[4:5], v[22:23]
	v_dual_mov_b32 v13, v17 :: v_dual_mov_b32 v12, v16
.LBB12_39:                              ;   in Loop: Header=BB12_4 Depth=1
	s_or_b32 exec_lo, exec_lo, s5
	ds_bpermute_b32 v14, v26, v10
	ds_bpermute_b32 v15, v26, v11
	s_wait_dscnt 0x3
	ds_bpermute_b32 v16, v26, v12
	s_wait_dscnt 0x3
	ds_bpermute_b32 v17, v26, v13
	s_mov_b32 s5, exec_lo
	s_wait_dscnt 0x2
	v_cmpx_ne_u64_e32 0, v[14:15]
	s_cbranch_execz .LBB12_43
; %bb.40:                               ;   in Loop: Header=BB12_4 Depth=1
	s_wait_dscnt 0x0
	v_cmp_ngt_f64_e32 vcc_lo, v[4:5], v[16:17]
	v_cmp_ne_u64_e64 s4, 0, v[10:11]
	v_mov_b64_e32 v[22:23], v[16:17]
	s_and_b32 s21, s4, vcc_lo
	s_delay_alu instid0(SALU_CYCLE_1)
	s_and_saveexec_b32 s4, s21
	s_cbranch_execz .LBB12_42
; %bb.41:                               ;   in Loop: Header=BB12_4 Depth=1
	v_min_i64 v[14:15], v[14:15], v[10:11]
	v_cmp_eq_f64_e32 vcc_lo, v[4:5], v[16:17]
	v_mov_b64_e32 v[22:23], v[4:5]
	v_dual_mov_b32 v16, v12 :: v_dual_mov_b32 v17, v13
	s_delay_alu instid0(VALU_DEP_4)
	v_dual_cndmask_b32 v14, v10, v14 :: v_dual_cndmask_b32 v15, v11, v15
.LBB12_42:                              ;   in Loop: Header=BB12_4 Depth=1
	s_or_b32 exec_lo, exec_lo, s4
	s_delay_alu instid0(VALU_DEP_1) | instskip(NEXT) | instid1(VALU_DEP_2)
	v_mov_b64_e32 v[10:11], v[14:15]
	v_mov_b64_e32 v[4:5], v[22:23]
	v_dual_mov_b32 v13, v17 :: v_dual_mov_b32 v12, v16
.LBB12_43:                              ;   in Loop: Header=BB12_4 Depth=1
	s_or_b32 exec_lo, exec_lo, s5
	ds_bpermute_b32 v14, v27, v10
	ds_bpermute_b32 v15, v27, v11
	s_wait_dscnt 0x3
	ds_bpermute_b32 v16, v27, v12
	s_wait_dscnt 0x3
	ds_bpermute_b32 v17, v27, v13
	s_mov_b32 s5, exec_lo
	s_wait_dscnt 0x2
	v_cmpx_ne_u64_e32 0, v[14:15]
	s_cbranch_execz .LBB12_47
; %bb.44:                               ;   in Loop: Header=BB12_4 Depth=1
	s_wait_dscnt 0x0
	v_cmp_ngt_f64_e32 vcc_lo, v[4:5], v[16:17]
	v_cmp_ne_u64_e64 s4, 0, v[10:11]
	v_mov_b64_e32 v[22:23], v[16:17]
	s_and_b32 s21, s4, vcc_lo
	s_delay_alu instid0(SALU_CYCLE_1)
	s_and_saveexec_b32 s4, s21
	s_cbranch_execz .LBB12_46
; %bb.45:                               ;   in Loop: Header=BB12_4 Depth=1
	v_min_i64 v[14:15], v[14:15], v[10:11]
	v_cmp_eq_f64_e32 vcc_lo, v[4:5], v[16:17]
	v_mov_b64_e32 v[22:23], v[4:5]
	v_dual_mov_b32 v16, v12 :: v_dual_mov_b32 v17, v13
	s_delay_alu instid0(VALU_DEP_4)
	v_dual_cndmask_b32 v14, v10, v14 :: v_dual_cndmask_b32 v15, v11, v15
.LBB12_46:                              ;   in Loop: Header=BB12_4 Depth=1
	s_or_b32 exec_lo, exec_lo, s4
	s_delay_alu instid0(VALU_DEP_1) | instskip(NEXT) | instid1(VALU_DEP_2)
	v_mov_b64_e32 v[10:11], v[14:15]
	v_mov_b64_e32 v[4:5], v[22:23]
	v_dual_mov_b32 v13, v17 :: v_dual_mov_b32 v12, v16
.LBB12_47:                              ;   in Loop: Header=BB12_4 Depth=1
	s_or_b32 exec_lo, exec_lo, s5
	ds_bpermute_b32 v14, v28, v10
	ds_bpermute_b32 v15, v28, v11
	;; [unrolled: 1-line block ×3, first 2 shown]
	s_wait_dscnt 0x4
	ds_bpermute_b32 v16, v28, v13
	s_mov_b32 s21, exec_lo
	s_wait_dscnt 0x2
	v_cmpx_ne_u64_e32 0, v[14:15]
	s_cbranch_execz .LBB12_49
; %bb.48:                               ;   in Loop: Header=BB12_4 Depth=1
	v_min_i64 v[22:23], v[14:15], v[10:11]
	s_wait_dscnt 0x0
	v_mov_b32_e32 v13, v16
	v_cmp_eq_u64_e64 s5, 0, v[10:11]
	s_delay_alu instid0(VALU_DEP_2) | instskip(NEXT) | instid1(VALU_DEP_4)
	v_cmp_eq_f64_e32 vcc_lo, v[4:5], v[12:13]
	v_cndmask_b32_e32 v3, v10, v22, vcc_lo
	v_cmp_gt_f64_e64 s4, v[4:5], v[12:13]
	v_cndmask_b32_e32 v10, v11, v23, vcc_lo
	s_or_b32 vcc_lo, s5, s4
	s_delay_alu instid0(VALU_DEP_1) | instid1(SALU_CYCLE_1)
	v_dual_cndmask_b32 v5, v5, v16, vcc_lo :: v_dual_cndmask_b32 v11, v10, v15, vcc_lo
	v_dual_cndmask_b32 v10, v3, v14, vcc_lo :: v_dual_cndmask_b32 v4, v4, v12, vcc_lo
.LBB12_49:                              ;   in Loop: Header=BB12_4 Depth=1
	s_or_b32 exec_lo, exec_lo, s21
	s_wait_dscnt 0x1
	s_delay_alu instid0(VALU_DEP_1)
	v_mov_b64_e32 v[12:13], v[4:5]
.LBB12_50:                              ;   in Loop: Header=BB12_4 Depth=1
	s_or_b32 exec_lo, exec_lo, s15
	s_wait_dscnt 0x0
	v_cmp_ne_u64_e32 vcc_lo, 0, v[10:11]
	s_and_b32 s4, s14, vcc_lo
	s_delay_alu instid0(SALU_CYCLE_1)
	s_and_saveexec_b32 s5, s4
	s_cbranch_execz .LBB12_3
; %bb.51:                               ;   in Loop: Header=BB12_4 Depth=1
	v_cmp_nlt_f64_e32 vcc_lo, v[12:13], v[8:9]
	v_cmp_ne_u64_e64 s4, 0, v[6:7]
	v_mov_b64_e32 v[4:5], v[12:13]
	s_and_b32 s15, s4, vcc_lo
	s_delay_alu instid0(SALU_CYCLE_1)
	s_and_saveexec_b32 s4, s15
	s_cbranch_execz .LBB12_2
; %bb.52:                               ;   in Loop: Header=BB12_4 Depth=1
	v_min_i64 v[4:5], v[10:11], v[6:7]
	v_cmp_eq_f64_e32 vcc_lo, v[8:9], v[12:13]
	s_delay_alu instid0(VALU_DEP_2)
	v_dual_cndmask_b32 v11, v7, v5 :: v_dual_cndmask_b32 v10, v6, v4
	v_mov_b64_e32 v[4:5], v[8:9]
	s_branch .LBB12_2
.LBB12_53:
	v_mov_b64_e32 v[6:7], 0
.LBB12_54:
	s_mov_b32 s3, 0
	s_mov_b32 s2, exec_lo
	v_cmpx_eq_u32_e32 0, v0
	s_cbranch_execz .LBB12_56
; %bb.55:
	s_load_b32 s2, s[0:1], 0x30
	v_mov_b32_e32 v0, s20
	s_wait_kmcnt 0x0
	s_mul_u64 s[0:1], s[2:3], s[16:17]
	s_delay_alu instid0(SALU_CYCLE_1) | instskip(NEXT) | instid1(SALU_CYCLE_1)
	s_lshl_b64 s[0:1], s[0:1], 4
	s_add_nc_u64 s[0:1], s[6:7], s[0:1]
	global_store_b128 v0, v[6:9], s[0:1] scale_offset
.LBB12_56:
	s_endpgm
	.section	.rodata,"a",@progbits
	.p2align	6, 0x0
	.amdhsa_kernel _ZL35rocblas_iamax_iamin_kernel_part1_64ILi1024E26rocblas_fetch_amax_amin_64IdE22rocblas_reduce_amin_64PKd24rocblas_index_64_value_tIdEEvlT2_lllPT3_
		.amdhsa_group_segment_fixed_size 512
		.amdhsa_private_segment_fixed_size 0
		.amdhsa_kernarg_size 304
		.amdhsa_user_sgpr_count 2
		.amdhsa_user_sgpr_dispatch_ptr 0
		.amdhsa_user_sgpr_queue_ptr 0
		.amdhsa_user_sgpr_kernarg_segment_ptr 1
		.amdhsa_user_sgpr_dispatch_id 0
		.amdhsa_user_sgpr_kernarg_preload_length 0
		.amdhsa_user_sgpr_kernarg_preload_offset 0
		.amdhsa_user_sgpr_private_segment_size 0
		.amdhsa_wavefront_size32 1
		.amdhsa_uses_dynamic_stack 0
		.amdhsa_enable_private_segment 0
		.amdhsa_system_sgpr_workgroup_id_x 1
		.amdhsa_system_sgpr_workgroup_id_y 0
		.amdhsa_system_sgpr_workgroup_id_z 1
		.amdhsa_system_sgpr_workgroup_info 0
		.amdhsa_system_vgpr_workitem_id 0
		.amdhsa_next_free_vgpr 30
		.amdhsa_next_free_sgpr 22
		.amdhsa_named_barrier_count 0
		.amdhsa_reserve_vcc 1
		.amdhsa_float_round_mode_32 0
		.amdhsa_float_round_mode_16_64 0
		.amdhsa_float_denorm_mode_32 3
		.amdhsa_float_denorm_mode_16_64 3
		.amdhsa_fp16_overflow 0
		.amdhsa_memory_ordered 1
		.amdhsa_forward_progress 1
		.amdhsa_inst_pref_size 18
		.amdhsa_round_robin_scheduling 0
		.amdhsa_exception_fp_ieee_invalid_op 0
		.amdhsa_exception_fp_denorm_src 0
		.amdhsa_exception_fp_ieee_div_zero 0
		.amdhsa_exception_fp_ieee_overflow 0
		.amdhsa_exception_fp_ieee_underflow 0
		.amdhsa_exception_fp_ieee_inexact 0
		.amdhsa_exception_int_div_zero 0
	.end_amdhsa_kernel
	.section	.text._ZL35rocblas_iamax_iamin_kernel_part1_64ILi1024E26rocblas_fetch_amax_amin_64IdE22rocblas_reduce_amin_64PKd24rocblas_index_64_value_tIdEEvlT2_lllPT3_,"axG",@progbits,_ZL35rocblas_iamax_iamin_kernel_part1_64ILi1024E26rocblas_fetch_amax_amin_64IdE22rocblas_reduce_amin_64PKd24rocblas_index_64_value_tIdEEvlT2_lllPT3_,comdat
.Lfunc_end12:
	.size	_ZL35rocblas_iamax_iamin_kernel_part1_64ILi1024E26rocblas_fetch_amax_amin_64IdE22rocblas_reduce_amin_64PKd24rocblas_index_64_value_tIdEEvlT2_lllPT3_, .Lfunc_end12-_ZL35rocblas_iamax_iamin_kernel_part1_64ILi1024E26rocblas_fetch_amax_amin_64IdE22rocblas_reduce_amin_64PKd24rocblas_index_64_value_tIdEEvlT2_lllPT3_
                                        ; -- End function
	.set _ZL35rocblas_iamax_iamin_kernel_part1_64ILi1024E26rocblas_fetch_amax_amin_64IdE22rocblas_reduce_amin_64PKd24rocblas_index_64_value_tIdEEvlT2_lllPT3_.num_vgpr, 30
	.set _ZL35rocblas_iamax_iamin_kernel_part1_64ILi1024E26rocblas_fetch_amax_amin_64IdE22rocblas_reduce_amin_64PKd24rocblas_index_64_value_tIdEEvlT2_lllPT3_.num_agpr, 0
	.set _ZL35rocblas_iamax_iamin_kernel_part1_64ILi1024E26rocblas_fetch_amax_amin_64IdE22rocblas_reduce_amin_64PKd24rocblas_index_64_value_tIdEEvlT2_lllPT3_.numbered_sgpr, 22
	.set _ZL35rocblas_iamax_iamin_kernel_part1_64ILi1024E26rocblas_fetch_amax_amin_64IdE22rocblas_reduce_amin_64PKd24rocblas_index_64_value_tIdEEvlT2_lllPT3_.num_named_barrier, 0
	.set _ZL35rocblas_iamax_iamin_kernel_part1_64ILi1024E26rocblas_fetch_amax_amin_64IdE22rocblas_reduce_amin_64PKd24rocblas_index_64_value_tIdEEvlT2_lllPT3_.private_seg_size, 0
	.set _ZL35rocblas_iamax_iamin_kernel_part1_64ILi1024E26rocblas_fetch_amax_amin_64IdE22rocblas_reduce_amin_64PKd24rocblas_index_64_value_tIdEEvlT2_lllPT3_.uses_vcc, 1
	.set _ZL35rocblas_iamax_iamin_kernel_part1_64ILi1024E26rocblas_fetch_amax_amin_64IdE22rocblas_reduce_amin_64PKd24rocblas_index_64_value_tIdEEvlT2_lllPT3_.uses_flat_scratch, 0
	.set _ZL35rocblas_iamax_iamin_kernel_part1_64ILi1024E26rocblas_fetch_amax_amin_64IdE22rocblas_reduce_amin_64PKd24rocblas_index_64_value_tIdEEvlT2_lllPT3_.has_dyn_sized_stack, 0
	.set _ZL35rocblas_iamax_iamin_kernel_part1_64ILi1024E26rocblas_fetch_amax_amin_64IdE22rocblas_reduce_amin_64PKd24rocblas_index_64_value_tIdEEvlT2_lllPT3_.has_recursion, 0
	.set _ZL35rocblas_iamax_iamin_kernel_part1_64ILi1024E26rocblas_fetch_amax_amin_64IdE22rocblas_reduce_amin_64PKd24rocblas_index_64_value_tIdEEvlT2_lllPT3_.has_indirect_call, 0
	.section	.AMDGPU.csdata,"",@progbits
; Kernel info:
; codeLenInByte = 2240
; TotalNumSgprs: 24
; NumVgprs: 30
; ScratchSize: 0
; MemoryBound: 0
; FloatMode: 240
; IeeeMode: 1
; LDSByteSize: 512 bytes/workgroup (compile time only)
; SGPRBlocks: 0
; VGPRBlocks: 1
; NumSGPRsForWavesPerEU: 24
; NumVGPRsForWavesPerEU: 30
; NamedBarCnt: 0
; Occupancy: 16
; WaveLimiterHint : 0
; COMPUTE_PGM_RSRC2:SCRATCH_EN: 0
; COMPUTE_PGM_RSRC2:USER_SGPR: 2
; COMPUTE_PGM_RSRC2:TRAP_HANDLER: 0
; COMPUTE_PGM_RSRC2:TGID_X_EN: 1
; COMPUTE_PGM_RSRC2:TGID_Y_EN: 0
; COMPUTE_PGM_RSRC2:TGID_Z_EN: 1
; COMPUTE_PGM_RSRC2:TIDIG_COMP_CNT: 0
	.section	.text._ZL35rocblas_iamax_iamin_kernel_part2_64ILi1024E22rocblas_reduce_amin_6424rocblas_index_64_value_tIdElEviPT1_PT2_,"axG",@progbits,_ZL35rocblas_iamax_iamin_kernel_part2_64ILi1024E22rocblas_reduce_amin_6424rocblas_index_64_value_tIdElEviPT1_PT2_,comdat
	.globl	_ZL35rocblas_iamax_iamin_kernel_part2_64ILi1024E22rocblas_reduce_amin_6424rocblas_index_64_value_tIdElEviPT1_PT2_ ; -- Begin function _ZL35rocblas_iamax_iamin_kernel_part2_64ILi1024E22rocblas_reduce_amin_6424rocblas_index_64_value_tIdElEviPT1_PT2_
	.p2align	8
	.type	_ZL35rocblas_iamax_iamin_kernel_part2_64ILi1024E22rocblas_reduce_amin_6424rocblas_index_64_value_tIdElEviPT1_PT2_,@function
_ZL35rocblas_iamax_iamin_kernel_part2_64ILi1024E22rocblas_reduce_amin_6424rocblas_index_64_value_tIdElEviPT1_PT2_: ; @_ZL35rocblas_iamax_iamin_kernel_part2_64ILi1024E22rocblas_reduce_amin_6424rocblas_index_64_value_tIdElEviPT1_PT2_
; %bb.0:
	s_clause 0x1
	s_load_b32 s2, s[0:1], 0x0
	s_load_b128 s[4:7], s[0:1], 0x8
	v_mov_b64_e32 v[2:3], 0
	s_getreg_b32 s8, hwreg(HW_REG_IB_STS2, 6, 4)
	s_mov_b32 s9, exec_lo
	s_wait_kmcnt 0x0
	v_cmpx_gt_i32_e64 s2, v0
	s_cbranch_execz .LBB13_10
; %bb.1:
	s_bfe_u32 s0, ttmp6, 0x4000c
	s_and_b32 s1, ttmp6, 15
	s_add_co_i32 s0, s0, 1
	s_mov_b32 s3, 0
	s_mul_i32 s0, ttmp9, s0
	v_or_b32_e32 v1, 0x400, v0
	s_add_co_i32 s1, s1, s0
	s_cmp_eq_u32 s8, 0
	s_cselect_b32 s0, ttmp9, s1
	s_mov_b32 s1, s3
	s_delay_alu instid0(SALU_CYCLE_1) | instskip(NEXT) | instid1(SALU_CYCLE_1)
	s_mul_u64 s[0:1], s[2:3], s[0:1]
	s_lshl_b64 s[0:1], s[0:1], 4
	s_delay_alu instid0(SALU_CYCLE_1)
	s_add_nc_u64 s[0:1], s[4:5], s[0:1]
	s_mov_b32 s4, exec_lo
	global_load_b128 v[2:5], v0, s[0:1] scale_offset
	s_wait_xcnt 0x0
	v_cmpx_gt_u32_e64 s2, v1
	s_cbranch_execz .LBB13_9
; %bb.2:
	v_dual_mov_b32 v7, 0 :: v_dual_lshlrev_b32 v6, 4, v0
	s_delay_alu instid0(VALU_DEP_1) | instskip(NEXT) | instid1(VALU_DEP_1)
	v_add_nc_u64_e32 v[6:7], s[0:1], v[6:7]
	v_add_nc_u64_e32 v[6:7], 0x4000, v[6:7]
	s_branch .LBB13_5
.LBB13_3:                               ;   in Loop: Header=BB13_5 Depth=1
	s_or_b32 exec_lo, exec_lo, s0
	s_delay_alu instid0(VALU_DEP_1) | instskip(NEXT) | instid1(VALU_DEP_3)
	v_mov_b64_e32 v[2:3], v[8:9]
	v_mov_b64_e32 v[4:5], v[10:11]
.LBB13_4:                               ;   in Loop: Header=BB13_5 Depth=1
	s_or_b32 exec_lo, exec_lo, s1
	v_add_nc_u32_e32 v1, 0x400, v1
	v_add_nc_u64_e32 v[6:7], 0x4000, v[6:7]
	s_delay_alu instid0(VALU_DEP_2) | instskip(SKIP_1) | instid1(SALU_CYCLE_1)
	v_cmp_le_i32_e32 vcc_lo, s2, v1
	s_or_b32 s3, vcc_lo, s3
	s_and_not1_b32 exec_lo, exec_lo, s3
	s_cbranch_execz .LBB13_8
.LBB13_5:                               ; =>This Inner Loop Header: Depth=1
	global_load_b64 v[8:9], v[6:7], off
	s_mov_b32 s1, exec_lo
	s_wait_loadcnt 0x0
	v_cmpx_ne_u64_e32 0, v[8:9]
	s_cbranch_execz .LBB13_4
; %bb.6:                                ;   in Loop: Header=BB13_5 Depth=1
	global_load_b64 v[10:11], v[6:7], off offset:8
	v_cmp_ne_u64_e64 s0, 0, v[2:3]
	s_wait_loadcnt 0x0
	v_cmp_nlt_f64_e32 vcc_lo, v[10:11], v[4:5]
	s_and_b32 s5, s0, vcc_lo
	s_delay_alu instid0(SALU_CYCLE_1)
	s_and_saveexec_b32 s0, s5
	s_cbranch_execz .LBB13_3
; %bb.7:                                ;   in Loop: Header=BB13_5 Depth=1
	v_min_i64 v[8:9], v[8:9], v[2:3]
	v_cmp_eq_f64_e32 vcc_lo, v[4:5], v[10:11]
	v_mov_b64_e32 v[10:11], v[4:5]
	s_delay_alu instid0(VALU_DEP_3)
	v_dual_cndmask_b32 v9, v3, v9 :: v_dual_cndmask_b32 v8, v2, v8
	s_branch .LBB13_3
.LBB13_8:
	s_or_b32 exec_lo, exec_lo, s3
.LBB13_9:
	s_delay_alu instid0(SALU_CYCLE_1)
	s_or_b32 exec_lo, exec_lo, s4
.LBB13_10:
	s_delay_alu instid0(SALU_CYCLE_1) | instskip(SKIP_2) | instid1(VALU_DEP_2)
	s_or_b32 exec_lo, exec_lo, s9
	v_and_b32_e32 v19, 31, v0
	v_cmp_gt_u32_e32 vcc_lo, 32, v0
	v_lshlrev_b32_e32 v14, 4, v19
	s_and_saveexec_b32 s0, vcc_lo
	s_cbranch_execz .LBB13_12
; %bb.11:
	v_mov_b32_e32 v6, 0
	s_delay_alu instid0(VALU_DEP_1)
	v_dual_mov_b32 v7, v6 :: v_dual_mov_b32 v8, v6
	v_mov_b32_e32 v9, v6
	ds_store_b128 v14, v[6:9]
.LBB13_12:
	s_or_b32 exec_lo, exec_lo, s0
	v_mbcnt_lo_u32_b32 v18, -1, 0
	s_wait_loadcnt 0x0
	v_mov_b64_e32 v[6:7], v[4:5]
	s_mov_b32 s2, exec_lo
	s_wait_dscnt 0x0
	s_barrier_signal -1
	v_lshl_or_b32 v1, v18, 2, 64
	s_barrier_wait -1
	ds_bpermute_b32 v8, v1, v2
	ds_bpermute_b32 v9, v1, v3
	;; [unrolled: 1-line block ×4, first 2 shown]
	s_wait_dscnt 0x2
	v_cmpx_ne_u64_e32 0, v[8:9]
	s_cbranch_execz .LBB13_16
; %bb.13:
	s_wait_dscnt 0x0
	v_cmp_ngt_f64_e64 s0, v[4:5], v[10:11]
	v_cmp_ne_u64_e64 s1, 0, v[2:3]
	v_mov_b64_e32 v[6:7], v[10:11]
	s_and_b32 s0, s1, s0
	s_delay_alu instid0(SALU_CYCLE_1)
	s_and_saveexec_b32 s1, s0
	s_cbranch_execz .LBB13_15
; %bb.14:
	v_min_i64 v[8:9], v[8:9], v[2:3]
	v_cmp_eq_f64_e64 s0, v[4:5], v[10:11]
	v_mov_b64_e32 v[6:7], v[4:5]
	v_dual_mov_b32 v10, v4 :: v_dual_mov_b32 v11, v5
	s_delay_alu instid0(VALU_DEP_3)
	v_dual_cndmask_b32 v8, v2, v8, s0 :: v_dual_cndmask_b32 v9, v3, v9, s0
.LBB13_15:
	s_or_b32 exec_lo, exec_lo, s1
	s_delay_alu instid0(VALU_DEP_1) | instskip(NEXT) | instid1(VALU_DEP_3)
	v_mov_b64_e32 v[2:3], v[8:9]
	v_dual_mov_b32 v5, v11 :: v_dual_mov_b32 v4, v10
.LBB13_16:
	s_or_b32 exec_lo, exec_lo, s2
	v_cmp_gt_u32_e64 s0, 24, v18
	s_mov_b32 s2, exec_lo
	v_cndmask_b32_e64 v8, 0, 8, s0
	s_delay_alu instid0(VALU_DEP_1)
	v_add_lshl_u32 v15, v8, v18, 2
	ds_bpermute_b32 v8, v15, v2
	ds_bpermute_b32 v9, v15, v3
	s_wait_dscnt 0x3
	ds_bpermute_b32 v10, v15, v4
	s_wait_dscnt 0x3
	ds_bpermute_b32 v11, v15, v5
	s_wait_dscnt 0x2
	v_cmpx_ne_u64_e32 0, v[8:9]
	s_cbranch_execz .LBB13_20
; %bb.17:
	s_wait_dscnt 0x0
	v_cmp_ngt_f64_e64 s0, v[6:7], v[10:11]
	v_cmp_ne_u64_e64 s1, 0, v[2:3]
	v_mov_b64_e32 v[12:13], v[10:11]
	s_and_b32 s0, s1, s0
	s_delay_alu instid0(SALU_CYCLE_1)
	s_and_saveexec_b32 s1, s0
	s_cbranch_execz .LBB13_19
; %bb.18:
	v_min_i64 v[8:9], v[8:9], v[2:3]
	v_cmp_eq_f64_e64 s0, v[6:7], v[10:11]
	v_mov_b64_e32 v[12:13], v[6:7]
	v_dual_mov_b32 v10, v4 :: v_dual_mov_b32 v11, v5
	s_delay_alu instid0(VALU_DEP_3)
	v_dual_cndmask_b32 v8, v2, v8, s0 :: v_dual_cndmask_b32 v9, v3, v9, s0
.LBB13_19:
	s_or_b32 exec_lo, exec_lo, s1
	s_delay_alu instid0(VALU_DEP_1) | instskip(NEXT) | instid1(VALU_DEP_2)
	v_mov_b64_e32 v[2:3], v[8:9]
	v_mov_b64_e32 v[6:7], v[12:13]
	v_dual_mov_b32 v5, v11 :: v_dual_mov_b32 v4, v10
.LBB13_20:
	s_or_b32 exec_lo, exec_lo, s2
	v_cmp_gt_u32_e64 s0, 28, v18
	s_mov_b32 s2, exec_lo
	v_cndmask_b32_e64 v8, 0, 4, s0
	s_delay_alu instid0(VALU_DEP_1)
	v_add_lshl_u32 v16, v8, v18, 2
	ds_bpermute_b32 v8, v16, v2
	ds_bpermute_b32 v9, v16, v3
	s_wait_dscnt 0x3
	ds_bpermute_b32 v10, v16, v4
	s_wait_dscnt 0x3
	ds_bpermute_b32 v11, v16, v5
	s_wait_dscnt 0x2
	v_cmpx_ne_u64_e32 0, v[8:9]
	s_cbranch_execz .LBB13_24
; %bb.21:
	s_wait_dscnt 0x0
	v_cmp_ngt_f64_e64 s0, v[6:7], v[10:11]
	v_cmp_ne_u64_e64 s1, 0, v[2:3]
	v_mov_b64_e32 v[12:13], v[10:11]
	s_and_b32 s0, s1, s0
	s_delay_alu instid0(SALU_CYCLE_1)
	s_and_saveexec_b32 s1, s0
	s_cbranch_execz .LBB13_23
; %bb.22:
	v_min_i64 v[8:9], v[8:9], v[2:3]
	v_cmp_eq_f64_e64 s0, v[6:7], v[10:11]
	v_mov_b64_e32 v[12:13], v[6:7]
	v_dual_mov_b32 v10, v4 :: v_dual_mov_b32 v11, v5
	s_delay_alu instid0(VALU_DEP_3)
	v_dual_cndmask_b32 v8, v2, v8, s0 :: v_dual_cndmask_b32 v9, v3, v9, s0
.LBB13_23:
	s_or_b32 exec_lo, exec_lo, s1
	s_delay_alu instid0(VALU_DEP_1) | instskip(NEXT) | instid1(VALU_DEP_2)
	v_mov_b64_e32 v[2:3], v[8:9]
	v_mov_b64_e32 v[6:7], v[12:13]
	v_dual_mov_b32 v5, v11 :: v_dual_mov_b32 v4, v10
.LBB13_24:
	;; [unrolled: 38-line block ×3, first 2 shown]
	s_or_b32 exec_lo, exec_lo, s2
	v_cmp_ne_u32_e64 s0, 31, v18
	s_mov_b32 s3, exec_lo
	v_add_co_ci_u32_e64 v8, null, 0, v18, s0
	s_delay_alu instid0(VALU_DEP_1)
	v_lshlrev_b32_e32 v18, 2, v8
	ds_bpermute_b32 v8, v18, v2
	ds_bpermute_b32 v9, v18, v3
	;; [unrolled: 1-line block ×3, first 2 shown]
	s_wait_dscnt 0x4
	ds_bpermute_b32 v10, v18, v5
	s_wait_dscnt 0x2
	v_cmpx_ne_u64_e32 0, v[8:9]
	s_cbranch_execz .LBB13_30
; %bb.29:
	v_min_i64 v[12:13], v[8:9], v[2:3]
	s_wait_dscnt 0x0
	v_mov_b32_e32 v5, v10
	v_cmp_eq_u64_e64 s2, 0, v[2:3]
	s_delay_alu instid0(VALU_DEP_2) | instskip(NEXT) | instid1(VALU_DEP_1)
	v_cmp_eq_f64_e64 s0, v[6:7], v[4:5]
	v_cndmask_b32_e64 v3, v3, v13, s0
	v_cmp_gt_f64_e64 s1, v[6:7], v[4:5]
	v_cndmask_b32_e64 v2, v2, v12, s0
	s_or_b32 s0, s2, s1
	s_delay_alu instid0(VALU_DEP_1) | instid1(SALU_CYCLE_1)
	v_dual_cndmask_b32 v3, v3, v9, s0 :: v_dual_cndmask_b32 v2, v2, v8, s0
	v_dual_cndmask_b32 v7, v7, v10, s0 :: v_dual_cndmask_b32 v6, v6, v4, s0
.LBB13_30:
	s_or_b32 exec_lo, exec_lo, s3
	s_delay_alu instid0(SALU_CYCLE_1)
	s_mov_b32 s1, exec_lo
	v_cmpx_eq_u32_e32 0, v19
	s_cbranch_execz .LBB13_32
; %bb.31:
	s_wait_dscnt 0x1
	v_dual_mov_b32 v4, v6 :: v_dual_lshrrev_b32 v5, 1, v0
	s_delay_alu instid0(VALU_DEP_1)
	v_and_b32_e32 v6, 0x1f0, v5
	v_mov_b32_e32 v5, v7
	ds_store_b128 v6, v[2:5]
.LBB13_32:
	s_or_b32 exec_lo, exec_lo, s1
	s_wait_dscnt 0x1
	v_mov_b64_e32 v[4:5], 0
	v_mov_b64_e32 v[2:3], 0
	s_wait_dscnt 0x0
	s_barrier_signal -1
	s_barrier_wait -1
	s_and_saveexec_b32 s0, vcc_lo
; %bb.33:
	ds_load_b128 v[2:5], v14
; %bb.34:
	s_or_b32 exec_lo, exec_lo, s0
	s_and_saveexec_b32 s2, vcc_lo
	s_cbranch_execz .LBB13_54
; %bb.35:
	s_wait_dscnt 0x0
	ds_bpermute_b32 v8, v1, v2
	ds_bpermute_b32 v9, v1, v3
	;; [unrolled: 1-line block ×4, first 2 shown]
	v_mov_b64_e32 v[6:7], v[4:5]
	s_mov_b32 s1, exec_lo
	s_wait_dscnt 0x2
	v_cmpx_ne_u64_e32 0, v[8:9]
	s_cbranch_execz .LBB13_39
; %bb.36:
	s_wait_dscnt 0x0
	v_cmp_ngt_f64_e32 vcc_lo, v[4:5], v[10:11]
	v_cmp_ne_u64_e64 s0, 0, v[2:3]
	v_mov_b64_e32 v[6:7], v[10:11]
	s_and_b32 s3, s0, vcc_lo
	s_delay_alu instid0(SALU_CYCLE_1)
	s_and_saveexec_b32 s0, s3
	s_cbranch_execz .LBB13_38
; %bb.37:
	v_min_i64 v[8:9], v[8:9], v[2:3]
	v_cmp_eq_f64_e32 vcc_lo, v[4:5], v[10:11]
	v_mov_b64_e32 v[6:7], v[4:5]
	v_dual_mov_b32 v10, v4 :: v_dual_mov_b32 v11, v5
	s_delay_alu instid0(VALU_DEP_4)
	v_dual_cndmask_b32 v8, v2, v8 :: v_dual_cndmask_b32 v9, v3, v9
.LBB13_38:
	s_or_b32 exec_lo, exec_lo, s0
	s_delay_alu instid0(VALU_DEP_1) | instskip(NEXT) | instid1(VALU_DEP_3)
	v_mov_b64_e32 v[2:3], v[8:9]
	v_dual_mov_b32 v5, v11 :: v_dual_mov_b32 v4, v10
.LBB13_39:
	s_or_b32 exec_lo, exec_lo, s1
	ds_bpermute_b32 v8, v15, v2
	ds_bpermute_b32 v9, v15, v3
	s_wait_dscnt 0x3
	ds_bpermute_b32 v10, v15, v4
	s_wait_dscnt 0x3
	ds_bpermute_b32 v11, v15, v5
	s_mov_b32 s1, exec_lo
	s_wait_dscnt 0x2
	v_cmpx_ne_u64_e32 0, v[8:9]
	s_cbranch_execz .LBB13_43
; %bb.40:
	s_wait_dscnt 0x0
	v_cmp_ngt_f64_e32 vcc_lo, v[6:7], v[10:11]
	v_cmp_ne_u64_e64 s0, 0, v[2:3]
	v_mov_b64_e32 v[12:13], v[10:11]
	s_and_b32 s3, s0, vcc_lo
	s_delay_alu instid0(SALU_CYCLE_1)
	s_and_saveexec_b32 s0, s3
	s_cbranch_execz .LBB13_42
; %bb.41:
	v_min_i64 v[8:9], v[8:9], v[2:3]
	v_cmp_eq_f64_e32 vcc_lo, v[6:7], v[10:11]
	v_mov_b64_e32 v[12:13], v[6:7]
	v_dual_mov_b32 v10, v4 :: v_dual_mov_b32 v11, v5
	s_delay_alu instid0(VALU_DEP_4)
	v_dual_cndmask_b32 v8, v2, v8 :: v_dual_cndmask_b32 v9, v3, v9
.LBB13_42:
	s_or_b32 exec_lo, exec_lo, s0
	s_delay_alu instid0(VALU_DEP_1) | instskip(NEXT) | instid1(VALU_DEP_2)
	v_mov_b64_e32 v[2:3], v[8:9]
	v_mov_b64_e32 v[6:7], v[12:13]
	v_dual_mov_b32 v5, v11 :: v_dual_mov_b32 v4, v10
.LBB13_43:
	s_or_b32 exec_lo, exec_lo, s1
	ds_bpermute_b32 v8, v16, v2
	ds_bpermute_b32 v9, v16, v3
	s_wait_dscnt 0x3
	ds_bpermute_b32 v10, v16, v4
	s_wait_dscnt 0x3
	ds_bpermute_b32 v11, v16, v5
	s_mov_b32 s1, exec_lo
	s_wait_dscnt 0x2
	v_cmpx_ne_u64_e32 0, v[8:9]
	s_cbranch_execz .LBB13_47
; %bb.44:
	s_wait_dscnt 0x0
	v_cmp_ngt_f64_e32 vcc_lo, v[6:7], v[10:11]
	v_cmp_ne_u64_e64 s0, 0, v[2:3]
	v_mov_b64_e32 v[12:13], v[10:11]
	s_and_b32 s3, s0, vcc_lo
	s_delay_alu instid0(SALU_CYCLE_1)
	s_and_saveexec_b32 s0, s3
	s_cbranch_execz .LBB13_46
; %bb.45:
	v_min_i64 v[8:9], v[8:9], v[2:3]
	v_cmp_eq_f64_e32 vcc_lo, v[6:7], v[10:11]
	v_mov_b64_e32 v[12:13], v[6:7]
	v_dual_mov_b32 v10, v4 :: v_dual_mov_b32 v11, v5
	s_delay_alu instid0(VALU_DEP_4)
	v_dual_cndmask_b32 v8, v2, v8 :: v_dual_cndmask_b32 v9, v3, v9
.LBB13_46:
	s_or_b32 exec_lo, exec_lo, s0
	s_delay_alu instid0(VALU_DEP_1) | instskip(NEXT) | instid1(VALU_DEP_2)
	v_mov_b64_e32 v[2:3], v[8:9]
	v_mov_b64_e32 v[6:7], v[12:13]
	v_dual_mov_b32 v5, v11 :: v_dual_mov_b32 v4, v10
.LBB13_47:
	;; [unrolled: 34-line block ×3, first 2 shown]
	s_or_b32 exec_lo, exec_lo, s1
	ds_bpermute_b32 v8, v18, v2
	ds_bpermute_b32 v9, v18, v3
	;; [unrolled: 1-line block ×4, first 2 shown]
	s_mov_b32 s3, exec_lo
	s_wait_dscnt 0x2
	v_cmpx_ne_u64_e32 0, v[8:9]
	s_cbranch_execz .LBB13_53
; %bb.52:
	v_min_i64 v[10:11], v[8:9], v[2:3]
	s_wait_dscnt 0x0
	v_cmp_eq_f64_e32 vcc_lo, v[6:7], v[4:5]
	v_cmp_gt_f64_e64 s0, v[6:7], v[4:5]
	v_cmp_eq_u64_e64 s1, 0, v[2:3]
	s_delay_alu instid0(VALU_DEP_4) | instskip(SKIP_1) | instid1(VALU_DEP_1)
	v_dual_cndmask_b32 v1, v2, v10 :: v_dual_cndmask_b32 v2, v3, v11
	s_or_b32 vcc_lo, s1, s0
	v_dual_cndmask_b32 v3, v2, v9 :: v_dual_cndmask_b32 v2, v1, v8
.LBB13_53:
	s_or_b32 exec_lo, exec_lo, s3
.LBB13_54:
	s_delay_alu instid0(SALU_CYCLE_1) | instskip(NEXT) | instid1(SALU_CYCLE_1)
	s_or_b32 exec_lo, exec_lo, s2
	s_mov_b32 s0, exec_lo
	v_cmpx_eq_u32_e32 0, v0
	s_cbranch_execz .LBB13_56
; %bb.55:
	s_bfe_u32 s0, ttmp6, 0x4000c
	s_and_b32 s1, ttmp6, 15
	s_add_co_i32 s0, s0, 1
	s_delay_alu instid0(SALU_CYCLE_1) | instskip(NEXT) | instid1(SALU_CYCLE_1)
	s_mul_i32 s0, ttmp9, s0
	s_add_co_i32 s1, s1, s0
	s_cmp_eq_u32 s8, 0
	s_cselect_b32 s0, ttmp9, s1
	s_delay_alu instid0(SALU_CYCLE_1)
	v_mov_b32_e32 v0, s0
	s_wait_dscnt 0x0
	global_store_b64 v0, v[2:3], s[6:7] scale_offset
.LBB13_56:
	s_endpgm
	.section	.rodata,"a",@progbits
	.p2align	6, 0x0
	.amdhsa_kernel _ZL35rocblas_iamax_iamin_kernel_part2_64ILi1024E22rocblas_reduce_amin_6424rocblas_index_64_value_tIdElEviPT1_PT2_
		.amdhsa_group_segment_fixed_size 512
		.amdhsa_private_segment_fixed_size 0
		.amdhsa_kernarg_size 24
		.amdhsa_user_sgpr_count 2
		.amdhsa_user_sgpr_dispatch_ptr 0
		.amdhsa_user_sgpr_queue_ptr 0
		.amdhsa_user_sgpr_kernarg_segment_ptr 1
		.amdhsa_user_sgpr_dispatch_id 0
		.amdhsa_user_sgpr_kernarg_preload_length 0
		.amdhsa_user_sgpr_kernarg_preload_offset 0
		.amdhsa_user_sgpr_private_segment_size 0
		.amdhsa_wavefront_size32 1
		.amdhsa_uses_dynamic_stack 0
		.amdhsa_enable_private_segment 0
		.amdhsa_system_sgpr_workgroup_id_x 1
		.amdhsa_system_sgpr_workgroup_id_y 0
		.amdhsa_system_sgpr_workgroup_id_z 0
		.amdhsa_system_sgpr_workgroup_info 0
		.amdhsa_system_vgpr_workitem_id 0
		.amdhsa_next_free_vgpr 20
		.amdhsa_next_free_sgpr 10
		.amdhsa_named_barrier_count 0
		.amdhsa_reserve_vcc 1
		.amdhsa_float_round_mode_32 0
		.amdhsa_float_round_mode_16_64 0
		.amdhsa_float_denorm_mode_32 3
		.amdhsa_float_denorm_mode_16_64 3
		.amdhsa_fp16_overflow 0
		.amdhsa_memory_ordered 1
		.amdhsa_forward_progress 1
		.amdhsa_inst_pref_size 18
		.amdhsa_round_robin_scheduling 0
		.amdhsa_exception_fp_ieee_invalid_op 0
		.amdhsa_exception_fp_denorm_src 0
		.amdhsa_exception_fp_ieee_div_zero 0
		.amdhsa_exception_fp_ieee_overflow 0
		.amdhsa_exception_fp_ieee_underflow 0
		.amdhsa_exception_fp_ieee_inexact 0
		.amdhsa_exception_int_div_zero 0
	.end_amdhsa_kernel
	.section	.text._ZL35rocblas_iamax_iamin_kernel_part2_64ILi1024E22rocblas_reduce_amin_6424rocblas_index_64_value_tIdElEviPT1_PT2_,"axG",@progbits,_ZL35rocblas_iamax_iamin_kernel_part2_64ILi1024E22rocblas_reduce_amin_6424rocblas_index_64_value_tIdElEviPT1_PT2_,comdat
.Lfunc_end13:
	.size	_ZL35rocblas_iamax_iamin_kernel_part2_64ILi1024E22rocblas_reduce_amin_6424rocblas_index_64_value_tIdElEviPT1_PT2_, .Lfunc_end13-_ZL35rocblas_iamax_iamin_kernel_part2_64ILi1024E22rocblas_reduce_amin_6424rocblas_index_64_value_tIdElEviPT1_PT2_
                                        ; -- End function
	.set _ZL35rocblas_iamax_iamin_kernel_part2_64ILi1024E22rocblas_reduce_amin_6424rocblas_index_64_value_tIdElEviPT1_PT2_.num_vgpr, 20
	.set _ZL35rocblas_iamax_iamin_kernel_part2_64ILi1024E22rocblas_reduce_amin_6424rocblas_index_64_value_tIdElEviPT1_PT2_.num_agpr, 0
	.set _ZL35rocblas_iamax_iamin_kernel_part2_64ILi1024E22rocblas_reduce_amin_6424rocblas_index_64_value_tIdElEviPT1_PT2_.numbered_sgpr, 10
	.set _ZL35rocblas_iamax_iamin_kernel_part2_64ILi1024E22rocblas_reduce_amin_6424rocblas_index_64_value_tIdElEviPT1_PT2_.num_named_barrier, 0
	.set _ZL35rocblas_iamax_iamin_kernel_part2_64ILi1024E22rocblas_reduce_amin_6424rocblas_index_64_value_tIdElEviPT1_PT2_.private_seg_size, 0
	.set _ZL35rocblas_iamax_iamin_kernel_part2_64ILi1024E22rocblas_reduce_amin_6424rocblas_index_64_value_tIdElEviPT1_PT2_.uses_vcc, 1
	.set _ZL35rocblas_iamax_iamin_kernel_part2_64ILi1024E22rocblas_reduce_amin_6424rocblas_index_64_value_tIdElEviPT1_PT2_.uses_flat_scratch, 0
	.set _ZL35rocblas_iamax_iamin_kernel_part2_64ILi1024E22rocblas_reduce_amin_6424rocblas_index_64_value_tIdElEviPT1_PT2_.has_dyn_sized_stack, 0
	.set _ZL35rocblas_iamax_iamin_kernel_part2_64ILi1024E22rocblas_reduce_amin_6424rocblas_index_64_value_tIdElEviPT1_PT2_.has_recursion, 0
	.set _ZL35rocblas_iamax_iamin_kernel_part2_64ILi1024E22rocblas_reduce_amin_6424rocblas_index_64_value_tIdElEviPT1_PT2_.has_indirect_call, 0
	.section	.AMDGPU.csdata,"",@progbits
; Kernel info:
; codeLenInByte = 2276
; TotalNumSgprs: 12
; NumVgprs: 20
; ScratchSize: 0
; MemoryBound: 0
; FloatMode: 240
; IeeeMode: 1
; LDSByteSize: 512 bytes/workgroup (compile time only)
; SGPRBlocks: 0
; VGPRBlocks: 1
; NumSGPRsForWavesPerEU: 12
; NumVGPRsForWavesPerEU: 20
; NamedBarCnt: 0
; Occupancy: 16
; WaveLimiterHint : 0
; COMPUTE_PGM_RSRC2:SCRATCH_EN: 0
; COMPUTE_PGM_RSRC2:USER_SGPR: 2
; COMPUTE_PGM_RSRC2:TRAP_HANDLER: 0
; COMPUTE_PGM_RSRC2:TGID_X_EN: 1
; COMPUTE_PGM_RSRC2:TGID_Y_EN: 0
; COMPUTE_PGM_RSRC2:TGID_Z_EN: 0
; COMPUTE_PGM_RSRC2:TIDIG_COMP_CNT: 0
	.section	.text._ZL35rocblas_iamax_iamin_kernel_part1_64ILi1024E26rocblas_fetch_amax_amin_64IfE22rocblas_reduce_amin_64PK19rocblas_complex_numIfE24rocblas_index_64_value_tIfEEvlT2_lllPT3_,"axG",@progbits,_ZL35rocblas_iamax_iamin_kernel_part1_64ILi1024E26rocblas_fetch_amax_amin_64IfE22rocblas_reduce_amin_64PK19rocblas_complex_numIfE24rocblas_index_64_value_tIfEEvlT2_lllPT3_,comdat
	.globl	_ZL35rocblas_iamax_iamin_kernel_part1_64ILi1024E26rocblas_fetch_amax_amin_64IfE22rocblas_reduce_amin_64PK19rocblas_complex_numIfE24rocblas_index_64_value_tIfEEvlT2_lllPT3_ ; -- Begin function _ZL35rocblas_iamax_iamin_kernel_part1_64ILi1024E26rocblas_fetch_amax_amin_64IfE22rocblas_reduce_amin_64PK19rocblas_complex_numIfE24rocblas_index_64_value_tIfEEvlT2_lllPT3_
	.p2align	8
	.type	_ZL35rocblas_iamax_iamin_kernel_part1_64ILi1024E26rocblas_fetch_amax_amin_64IfE22rocblas_reduce_amin_64PK19rocblas_complex_numIfE24rocblas_index_64_value_tIfEEvlT2_lllPT3_,@function
_ZL35rocblas_iamax_iamin_kernel_part1_64ILi1024E26rocblas_fetch_amax_amin_64IfE22rocblas_reduce_amin_64PK19rocblas_complex_numIfE24rocblas_index_64_value_tIfEEvlT2_lllPT3_: ; @_ZL35rocblas_iamax_iamin_kernel_part1_64ILi1024E26rocblas_fetch_amax_amin_64IfE22rocblas_reduce_amin_64PK19rocblas_complex_numIfE24rocblas_index_64_value_tIfEEvlT2_lllPT3_
; %bb.0:
	s_clause 0x1
	s_load_b256 s[8:15], s[0:1], 0x0
	s_load_b128 s[4:7], s[0:1], 0x20
	s_bfe_u32 s2, ttmp6, 0x40014
	s_lshr_b32 s3, ttmp7, 16
	s_add_co_i32 s2, s2, 1
	s_bfe_u32 s17, ttmp6, 0x4000c
	s_mul_i32 s2, s3, s2
	s_bfe_u32 s16, ttmp6, 0x40008
	s_add_co_i32 s17, s17, 1
	s_add_co_i32 s2, s16, s2
	s_and_b32 s16, ttmp6, 15
	s_mul_i32 s17, ttmp9, s17
	s_getreg_b32 s18, hwreg(HW_REG_IB_STS2, 6, 4)
	s_add_co_i32 s16, s16, s17
	s_cmp_eq_u32 s18, 0
	s_cselect_b32 s16, ttmp9, s16
	s_cselect_b32 s18, s3, s2
	s_wait_kmcnt 0x0
	v_cmp_lt_i64_e64 s19, s[8:9], 1
	s_and_b32 vcc_lo, exec_lo, s19
	s_mov_b32 s19, 0
	s_cbranch_vccnz .LBB14_53
; %bb.1:
	v_lshl_or_b32 v6, s16, 10, v0
	v_dual_mov_b32 v7, 0 :: v_dual_bitop2_b32 v2, 31, v0 bitop3:0x40
	v_mbcnt_lo_u32_b32 v3, -1, 0
	s_load_b32 s17, s[0:1], 0x30
	s_mul_u64 s[4:5], s[4:5], s[18:19]
	s_delay_alu instid0(VALU_DEP_2)
	v_mul_u64_e32 v[10:11], s[14:15], v[6:7]
	v_lshlrev_b32_e32 v1, 4, v2
	v_cmp_gt_u32_e32 vcc_lo, 24, v3
	s_lshl_b64 s[12:13], s[12:13], 3
	s_lshl_b64 s[4:5], s[4:5], 3
	s_add_nc_u64 s[10:11], s[10:11], s[12:13]
	v_lshl_or_b32 v5, v3, 2, 64
	v_cndmask_b32_e64 v4, 0, 8, vcc_lo
	v_cmp_gt_u32_e32 vcc_lo, 28, v3
	v_cmp_eq_u32_e64 s3, 0, v2
	s_add_nc_u64 s[4:5], s[10:11], s[4:5]
	s_mov_b32 s21, s19
	v_add_lshl_u32 v16, v4, v3, 2
	v_cndmask_b32_e64 v8, 0, 4, vcc_lo
	v_cmp_gt_u32_e32 vcc_lo, 30, v3
	v_lshrrev_b32_e32 v4, 1, v0
	v_cmp_gt_u32_e64 s2, 32, v0
	s_mov_b64 s[12:13], 0
	v_add_lshl_u32 v17, v8, v3, 2
	v_cndmask_b32_e64 v9, 0, 2, vcc_lo
	v_cmp_ne_u32_e32 vcc_lo, 31, v3
	v_and_b32_e32 v20, 0x1f0, v4
	s_wait_kmcnt 0x0
	s_lshl_b32 s20, s17, 10
                                        ; implicit-def: $vgpr21
	v_add_lshl_u32 v18, v9, v3, 2
	v_add_co_ci_u32_e64 v12, null, 0, v3, vcc_lo
	v_cmp_ne_u32_e32 vcc_lo, 0, v0
	v_mov_b64_e32 v[8:9], 0
	v_mov_b64_e32 v[2:3], 0
	s_delay_alu instid0(VALU_DEP_4)
	v_lshlrev_b32_e32 v19, 2, v12
	s_mul_u64 s[10:11], s[14:15], s[20:21]
	v_lshl_add_u64 v[10:11], v[10:11], 3, s[4:5]
	s_lshl_b64 s[10:11], s[10:11], 3
	s_xor_b32 s14, vcc_lo, -1
	s_branch .LBB14_4
.LBB14_2:                               ;   in Loop: Header=BB14_4 Depth=1
	s_or_b32 exec_lo, exec_lo, s4
	s_delay_alu instid0(VALU_DEP_1)
	v_mov_b64_e32 v[2:3], v[12:13]
	v_mov_b32_e32 v4, v14
.LBB14_3:                               ;   in Loop: Header=BB14_4 Depth=1
	s_or_b32 exec_lo, exec_lo, s5
	s_add_nc_u64 s[12:13], s[12:13], s[20:21]
	v_add_nc_u64_e32 v[10:11], s[10:11], v[10:11]
	v_cmp_ge_i64_e64 s4, s[12:13], s[8:9]
	s_and_b32 vcc_lo, exec_lo, s4
	s_cbranch_vccnz .LBB14_54
.LBB14_4:                               ; =>This Inner Loop Header: Depth=1
	v_add_nc_u64_e32 v[14:15], s[12:13], v[6:7]
	v_mov_b64_e32 v[12:13], 0
	s_mov_b32 s4, exec_lo
	s_delay_alu instid0(VALU_DEP_2)
	v_cmpx_gt_i64_e64 s[8:9], v[14:15]
	s_cbranch_execz .LBB14_6
; %bb.5:                                ;   in Loop: Header=BB14_4 Depth=1
	global_load_b64 v[12:13], v[10:11], off
	s_wait_loadcnt 0x0
	v_cmp_gt_f32_e32 vcc_lo, 0, v13
	s_wait_dscnt 0x0
	v_cndmask_b32_e64 v21, v13, -v13, vcc_lo
	v_cmp_gt_f32_e32 vcc_lo, 0, v12
	v_cndmask_b32_e64 v22, v12, -v12, vcc_lo
	v_add_nc_u64_e32 v[12:13], 1, v[14:15]
	s_delay_alu instid0(VALU_DEP_2)
	v_add_f32_e32 v21, v22, v21
.LBB14_6:                               ;   in Loop: Header=BB14_4 Depth=1
	s_wait_xcnt 0x0
	s_or_b32 exec_lo, exec_lo, s4
	s_and_saveexec_b32 s4, s2
	s_cbranch_execz .LBB14_8
; %bb.7:                                ;   in Loop: Header=BB14_4 Depth=1
	ds_store_b64 v1, v[8:9]
	ds_store_b32 v1, v7 offset:8
.LBB14_8:                               ;   in Loop: Header=BB14_4 Depth=1
	s_or_b32 exec_lo, exec_lo, s4
	ds_bpermute_b32 v14, v5, v12
	ds_bpermute_b32 v15, v5, v13
	s_wait_dscnt 0x2
	ds_bpermute_b32 v23, v5, v21
	v_mov_b32_e32 v22, v21
	s_mov_b32 s5, exec_lo
	s_wait_dscnt 0x0
	s_barrier_signal -1
	s_barrier_wait -1
	v_cmpx_ne_u64_e32 0, v[14:15]
	s_cbranch_execz .LBB14_12
; %bb.9:                                ;   in Loop: Header=BB14_4 Depth=1
	v_cmp_ne_u64_e32 vcc_lo, 0, v[12:13]
	v_cmp_ngt_f32_e64 s4, v21, v23
	s_and_b32 s15, vcc_lo, s4
	s_delay_alu instid0(SALU_CYCLE_1)
	s_and_saveexec_b32 s4, s15
	s_cbranch_execz .LBB14_11
; %bb.10:                               ;   in Loop: Header=BB14_4 Depth=1
	v_min_i64 v[14:15], v[14:15], v[12:13]
	v_cmp_eq_f32_e32 vcc_lo, v21, v23
	v_mov_b32_e32 v23, v21
	s_delay_alu instid0(VALU_DEP_3)
	v_dual_cndmask_b32 v15, v13, v15 :: v_dual_cndmask_b32 v14, v12, v14
.LBB14_11:                              ;   in Loop: Header=BB14_4 Depth=1
	s_or_b32 exec_lo, exec_lo, s4
	s_delay_alu instid0(VALU_DEP_1) | instskip(NEXT) | instid1(VALU_DEP_3)
	v_mov_b64_e32 v[12:13], v[14:15]
	v_dual_mov_b32 v21, v23 :: v_dual_mov_b32 v22, v23
.LBB14_12:                              ;   in Loop: Header=BB14_4 Depth=1
	s_or_b32 exec_lo, exec_lo, s5
	ds_bpermute_b32 v14, v16, v12
	ds_bpermute_b32 v15, v16, v13
	;; [unrolled: 1-line block ×3, first 2 shown]
	s_mov_b32 s5, exec_lo
	s_wait_dscnt 0x1
	v_cmpx_ne_u64_e32 0, v[14:15]
	s_cbranch_execz .LBB14_16
; %bb.13:                               ;   in Loop: Header=BB14_4 Depth=1
	v_cmp_ne_u64_e32 vcc_lo, 0, v[12:13]
	s_wait_dscnt 0x0
	v_cmp_ngt_f32_e64 s4, v22, v23
	v_mov_b32_e32 v24, v23
	s_and_b32 s15, vcc_lo, s4
	s_delay_alu instid0(SALU_CYCLE_1)
	s_and_saveexec_b32 s4, s15
	s_cbranch_execz .LBB14_15
; %bb.14:                               ;   in Loop: Header=BB14_4 Depth=1
	v_min_i64 v[14:15], v[14:15], v[12:13]
	v_cmp_eq_f32_e32 vcc_lo, v22, v23
	v_dual_mov_b32 v24, v22 :: v_dual_mov_b32 v23, v21
	s_delay_alu instid0(VALU_DEP_3)
	v_dual_cndmask_b32 v14, v12, v14 :: v_dual_cndmask_b32 v15, v13, v15
.LBB14_15:                              ;   in Loop: Header=BB14_4 Depth=1
	s_or_b32 exec_lo, exec_lo, s4
	s_delay_alu instid0(VALU_DEP_1) | instskip(NEXT) | instid1(VALU_DEP_2)
	v_mov_b64_e32 v[12:13], v[14:15]
	v_dual_mov_b32 v21, v23 :: v_dual_mov_b32 v22, v24
.LBB14_16:                              ;   in Loop: Header=BB14_4 Depth=1
	s_or_b32 exec_lo, exec_lo, s5
	ds_bpermute_b32 v14, v17, v12
	ds_bpermute_b32 v15, v17, v13
	s_wait_dscnt 0x2
	ds_bpermute_b32 v23, v17, v21
	s_mov_b32 s5, exec_lo
	s_wait_dscnt 0x1
	v_cmpx_ne_u64_e32 0, v[14:15]
	s_cbranch_execz .LBB14_20
; %bb.17:                               ;   in Loop: Header=BB14_4 Depth=1
	v_cmp_ne_u64_e32 vcc_lo, 0, v[12:13]
	s_wait_dscnt 0x0
	v_cmp_ngt_f32_e64 s4, v22, v23
	v_mov_b32_e32 v24, v23
	s_and_b32 s15, vcc_lo, s4
	s_delay_alu instid0(SALU_CYCLE_1)
	s_and_saveexec_b32 s4, s15
	s_cbranch_execz .LBB14_19
; %bb.18:                               ;   in Loop: Header=BB14_4 Depth=1
	v_min_i64 v[14:15], v[14:15], v[12:13]
	v_cmp_eq_f32_e32 vcc_lo, v22, v23
	v_dual_mov_b32 v24, v22 :: v_dual_mov_b32 v23, v21
	s_delay_alu instid0(VALU_DEP_3)
	v_dual_cndmask_b32 v14, v12, v14 :: v_dual_cndmask_b32 v15, v13, v15
.LBB14_19:                              ;   in Loop: Header=BB14_4 Depth=1
	s_or_b32 exec_lo, exec_lo, s4
	s_delay_alu instid0(VALU_DEP_1) | instskip(NEXT) | instid1(VALU_DEP_2)
	v_mov_b64_e32 v[12:13], v[14:15]
	v_dual_mov_b32 v21, v23 :: v_dual_mov_b32 v22, v24
.LBB14_20:                              ;   in Loop: Header=BB14_4 Depth=1
	s_or_b32 exec_lo, exec_lo, s5
	ds_bpermute_b32 v14, v18, v12
	ds_bpermute_b32 v15, v18, v13
	s_wait_dscnt 0x2
	ds_bpermute_b32 v23, v18, v21
	s_mov_b32 s5, exec_lo
	s_wait_dscnt 0x1
	v_cmpx_ne_u64_e32 0, v[14:15]
	s_cbranch_execz .LBB14_24
; %bb.21:                               ;   in Loop: Header=BB14_4 Depth=1
	v_cmp_ne_u64_e32 vcc_lo, 0, v[12:13]
	s_wait_dscnt 0x0
	v_cmp_ngt_f32_e64 s4, v22, v23
	v_mov_b32_e32 v24, v23
	s_and_b32 s15, vcc_lo, s4
	s_delay_alu instid0(SALU_CYCLE_1)
	s_and_saveexec_b32 s4, s15
	s_cbranch_execz .LBB14_23
; %bb.22:                               ;   in Loop: Header=BB14_4 Depth=1
	v_min_i64 v[14:15], v[14:15], v[12:13]
	v_cmp_eq_f32_e32 vcc_lo, v22, v23
	v_dual_mov_b32 v24, v22 :: v_dual_mov_b32 v23, v21
	s_delay_alu instid0(VALU_DEP_3)
	v_dual_cndmask_b32 v14, v12, v14 :: v_dual_cndmask_b32 v15, v13, v15
.LBB14_23:                              ;   in Loop: Header=BB14_4 Depth=1
	s_or_b32 exec_lo, exec_lo, s4
	s_delay_alu instid0(VALU_DEP_1) | instskip(NEXT) | instid1(VALU_DEP_2)
	v_mov_b64_e32 v[12:13], v[14:15]
	v_dual_mov_b32 v21, v23 :: v_dual_mov_b32 v22, v24
.LBB14_24:                              ;   in Loop: Header=BB14_4 Depth=1
	s_or_b32 exec_lo, exec_lo, s5
	ds_bpermute_b32 v14, v19, v12
	ds_bpermute_b32 v15, v19, v13
	;; [unrolled: 1-line block ×3, first 2 shown]
	s_mov_b32 s15, exec_lo
	s_wait_dscnt 0x1
	v_cmpx_ne_u64_e32 0, v[14:15]
	s_cbranch_execz .LBB14_26
; %bb.25:                               ;   in Loop: Header=BB14_4 Depth=1
	v_min_i64 v[24:25], v[14:15], v[12:13]
	s_wait_dscnt 0x0
	v_cmp_eq_f32_e32 vcc_lo, v22, v21
	v_cmp_eq_u64_e64 s4, 0, v[12:13]
	v_cmp_gt_f32_e64 s5, v22, v21
	s_delay_alu instid0(VALU_DEP_4)
	v_dual_cndmask_b32 v12, v12, v24 :: v_dual_cndmask_b32 v13, v13, v25
	s_or_b32 vcc_lo, s4, s5
	s_delay_alu instid0(VALU_DEP_1) | instid1(SALU_CYCLE_1)
	v_dual_cndmask_b32 v22, v22, v21, vcc_lo :: v_dual_cndmask_b32 v12, v12, v14, vcc_lo
	s_delay_alu instid0(VALU_DEP_2)
	v_cndmask_b32_e32 v13, v13, v15, vcc_lo
.LBB14_26:                              ;   in Loop: Header=BB14_4 Depth=1
	s_or_b32 exec_lo, exec_lo, s15
	s_and_saveexec_b32 s4, s3
	s_cbranch_execz .LBB14_28
; %bb.27:                               ;   in Loop: Header=BB14_4 Depth=1
	ds_store_b64 v20, v[12:13]
	ds_store_b32 v20, v22 offset:8
.LBB14_28:                              ;   in Loop: Header=BB14_4 Depth=1
	s_or_b32 exec_lo, exec_lo, s4
	v_mov_b64_e32 v[12:13], 0
	s_wait_dscnt 0x0
	v_mov_b32_e32 v21, 0
	s_barrier_signal -1
	s_barrier_wait -1
	s_and_saveexec_b32 s4, s2
	s_cbranch_execz .LBB14_30
; %bb.29:                               ;   in Loop: Header=BB14_4 Depth=1
	ds_load_b64 v[12:13], v1
	ds_load_b32 v21, v1 offset:8
.LBB14_30:                              ;   in Loop: Header=BB14_4 Depth=1
	s_or_b32 exec_lo, exec_lo, s4
	s_and_saveexec_b32 s15, s2
	s_cbranch_execz .LBB14_50
; %bb.31:                               ;   in Loop: Header=BB14_4 Depth=1
	s_wait_dscnt 0x1
	ds_bpermute_b32 v14, v5, v12
	ds_bpermute_b32 v15, v5, v13
	s_wait_dscnt 0x2
	ds_bpermute_b32 v23, v5, v21
	v_mov_b32_e32 v22, v21
	s_mov_b32 s5, exec_lo
	s_wait_dscnt 0x1
	v_cmpx_ne_u64_e32 0, v[14:15]
	s_cbranch_execz .LBB14_35
; %bb.32:                               ;   in Loop: Header=BB14_4 Depth=1
	v_cmp_ne_u64_e32 vcc_lo, 0, v[12:13]
	s_wait_dscnt 0x0
	v_cmp_ngt_f32_e64 s4, v21, v23
	s_and_b32 s17, vcc_lo, s4
	s_delay_alu instid0(SALU_CYCLE_1)
	s_and_saveexec_b32 s4, s17
	s_cbranch_execz .LBB14_34
; %bb.33:                               ;   in Loop: Header=BB14_4 Depth=1
	v_min_i64 v[14:15], v[14:15], v[12:13]
	v_cmp_eq_f32_e32 vcc_lo, v21, v23
	v_mov_b32_e32 v23, v21
	s_delay_alu instid0(VALU_DEP_3)
	v_dual_cndmask_b32 v15, v13, v15 :: v_dual_cndmask_b32 v14, v12, v14
.LBB14_34:                              ;   in Loop: Header=BB14_4 Depth=1
	s_or_b32 exec_lo, exec_lo, s4
	s_delay_alu instid0(VALU_DEP_1) | instskip(NEXT) | instid1(VALU_DEP_3)
	v_mov_b64_e32 v[12:13], v[14:15]
	v_dual_mov_b32 v21, v23 :: v_dual_mov_b32 v22, v23
.LBB14_35:                              ;   in Loop: Header=BB14_4 Depth=1
	s_or_b32 exec_lo, exec_lo, s5
	ds_bpermute_b32 v14, v16, v12
	ds_bpermute_b32 v15, v16, v13
	s_wait_dscnt 0x2
	ds_bpermute_b32 v23, v16, v21
	s_mov_b32 s5, exec_lo
	s_wait_dscnt 0x1
	v_cmpx_ne_u64_e32 0, v[14:15]
	s_cbranch_execz .LBB14_39
; %bb.36:                               ;   in Loop: Header=BB14_4 Depth=1
	v_cmp_ne_u64_e32 vcc_lo, 0, v[12:13]
	s_wait_dscnt 0x0
	v_cmp_ngt_f32_e64 s4, v22, v23
	v_mov_b32_e32 v24, v23
	s_and_b32 s17, vcc_lo, s4
	s_delay_alu instid0(SALU_CYCLE_1)
	s_and_saveexec_b32 s4, s17
	s_cbranch_execz .LBB14_38
; %bb.37:                               ;   in Loop: Header=BB14_4 Depth=1
	v_min_i64 v[14:15], v[14:15], v[12:13]
	v_cmp_eq_f32_e32 vcc_lo, v22, v23
	v_dual_mov_b32 v24, v22 :: v_dual_mov_b32 v23, v21
	s_delay_alu instid0(VALU_DEP_3)
	v_dual_cndmask_b32 v14, v12, v14 :: v_dual_cndmask_b32 v15, v13, v15
.LBB14_38:                              ;   in Loop: Header=BB14_4 Depth=1
	s_or_b32 exec_lo, exec_lo, s4
	s_delay_alu instid0(VALU_DEP_1) | instskip(NEXT) | instid1(VALU_DEP_2)
	v_mov_b64_e32 v[12:13], v[14:15]
	v_dual_mov_b32 v21, v23 :: v_dual_mov_b32 v22, v24
.LBB14_39:                              ;   in Loop: Header=BB14_4 Depth=1
	s_or_b32 exec_lo, exec_lo, s5
	ds_bpermute_b32 v14, v17, v12
	ds_bpermute_b32 v15, v17, v13
	s_wait_dscnt 0x2
	ds_bpermute_b32 v23, v17, v21
	s_mov_b32 s5, exec_lo
	s_wait_dscnt 0x1
	v_cmpx_ne_u64_e32 0, v[14:15]
	s_cbranch_execz .LBB14_43
; %bb.40:                               ;   in Loop: Header=BB14_4 Depth=1
	v_cmp_ne_u64_e32 vcc_lo, 0, v[12:13]
	s_wait_dscnt 0x0
	v_cmp_ngt_f32_e64 s4, v22, v23
	v_mov_b32_e32 v24, v23
	s_and_b32 s17, vcc_lo, s4
	s_delay_alu instid0(SALU_CYCLE_1)
	s_and_saveexec_b32 s4, s17
	s_cbranch_execz .LBB14_42
; %bb.41:                               ;   in Loop: Header=BB14_4 Depth=1
	v_min_i64 v[14:15], v[14:15], v[12:13]
	v_cmp_eq_f32_e32 vcc_lo, v22, v23
	v_dual_mov_b32 v24, v22 :: v_dual_mov_b32 v23, v21
	s_delay_alu instid0(VALU_DEP_3)
	v_dual_cndmask_b32 v14, v12, v14 :: v_dual_cndmask_b32 v15, v13, v15
.LBB14_42:                              ;   in Loop: Header=BB14_4 Depth=1
	s_or_b32 exec_lo, exec_lo, s4
	s_delay_alu instid0(VALU_DEP_1) | instskip(NEXT) | instid1(VALU_DEP_2)
	v_mov_b64_e32 v[12:13], v[14:15]
	v_dual_mov_b32 v21, v23 :: v_dual_mov_b32 v22, v24
.LBB14_43:                              ;   in Loop: Header=BB14_4 Depth=1
	;; [unrolled: 30-line block ×3, first 2 shown]
	s_or_b32 exec_lo, exec_lo, s5
	ds_bpermute_b32 v14, v19, v12
	ds_bpermute_b32 v15, v19, v13
	;; [unrolled: 1-line block ×3, first 2 shown]
	s_mov_b32 s17, exec_lo
	s_wait_dscnt 0x1
	v_cmpx_ne_u64_e32 0, v[14:15]
	s_cbranch_execz .LBB14_49
; %bb.48:                               ;   in Loop: Header=BB14_4 Depth=1
	v_min_i64 v[24:25], v[14:15], v[12:13]
	s_wait_dscnt 0x0
	v_cmp_eq_f32_e32 vcc_lo, v22, v21
	v_cmp_eq_u64_e64 s4, 0, v[12:13]
	v_cmp_gt_f32_e64 s5, v22, v21
	s_delay_alu instid0(VALU_DEP_4)
	v_dual_cndmask_b32 v12, v12, v24 :: v_dual_cndmask_b32 v13, v13, v25
	s_or_b32 vcc_lo, s4, s5
	s_delay_alu instid0(VALU_DEP_1) | instid1(SALU_CYCLE_1)
	v_dual_cndmask_b32 v22, v22, v21, vcc_lo :: v_dual_cndmask_b32 v12, v12, v14, vcc_lo
	s_delay_alu instid0(VALU_DEP_2)
	v_cndmask_b32_e32 v13, v13, v15, vcc_lo
.LBB14_49:                              ;   in Loop: Header=BB14_4 Depth=1
	s_or_b32 exec_lo, exec_lo, s17
	s_wait_dscnt 0x0
	s_delay_alu instid0(VALU_DEP_2)
	v_mov_b32_e32 v21, v22
.LBB14_50:                              ;   in Loop: Header=BB14_4 Depth=1
	s_or_b32 exec_lo, exec_lo, s15
	s_wait_dscnt 0x1
	v_cmp_ne_u64_e32 vcc_lo, 0, v[12:13]
	s_and_b32 s4, s14, vcc_lo
	s_delay_alu instid0(SALU_CYCLE_1)
	s_and_saveexec_b32 s5, s4
	s_cbranch_execz .LBB14_3
; %bb.51:                               ;   in Loop: Header=BB14_4 Depth=1
	v_cmp_ne_u64_e32 vcc_lo, 0, v[2:3]
	s_wait_dscnt 0x0
	v_cmp_nlt_f32_e64 s4, v21, v4
	v_mov_b32_e32 v14, v21
	s_and_b32 s15, vcc_lo, s4
	s_delay_alu instid0(SALU_CYCLE_1)
	s_and_saveexec_b32 s4, s15
	s_cbranch_execz .LBB14_2
; %bb.52:                               ;   in Loop: Header=BB14_4 Depth=1
	v_min_i64 v[12:13], v[12:13], v[2:3]
	v_cmp_eq_f32_e32 vcc_lo, v4, v21
	s_delay_alu instid0(VALU_DEP_2) | instskip(NEXT) | instid1(VALU_DEP_3)
	v_dual_mov_b32 v14, v4 :: v_dual_cndmask_b32 v13, v3, v13
	v_cndmask_b32_e32 v12, v2, v12, vcc_lo
	s_branch .LBB14_2
.LBB14_53:
	v_mov_b64_e32 v[2:3], 0
.LBB14_54:
	s_mov_b32 s3, 0
	s_mov_b32 s2, exec_lo
	v_cmpx_eq_u32_e32 0, v0
	s_cbranch_execz .LBB14_56
; %bb.55:
	s_load_b32 s2, s[0:1], 0x30
	s_mov_b32 s17, s3
	v_mov_b32_e32 v0, 0
	s_wait_kmcnt 0x0
	s_mul_u64 s[0:1], s[2:3], s[18:19]
	s_lshl_b64 s[2:3], s[16:17], 4
	s_lshl_b64 s[0:1], s[0:1], 4
	s_delay_alu instid0(SALU_CYCLE_1) | instskip(NEXT) | instid1(SALU_CYCLE_1)
	s_add_nc_u64 s[0:1], s[6:7], s[0:1]
	s_add_nc_u64 s[0:1], s[0:1], s[2:3]
	global_store_b96 v0, v[2:4], s[0:1]
.LBB14_56:
	s_endpgm
	.section	.rodata,"a",@progbits
	.p2align	6, 0x0
	.amdhsa_kernel _ZL35rocblas_iamax_iamin_kernel_part1_64ILi1024E26rocblas_fetch_amax_amin_64IfE22rocblas_reduce_amin_64PK19rocblas_complex_numIfE24rocblas_index_64_value_tIfEEvlT2_lllPT3_
		.amdhsa_group_segment_fixed_size 512
		.amdhsa_private_segment_fixed_size 0
		.amdhsa_kernarg_size 304
		.amdhsa_user_sgpr_count 2
		.amdhsa_user_sgpr_dispatch_ptr 0
		.amdhsa_user_sgpr_queue_ptr 0
		.amdhsa_user_sgpr_kernarg_segment_ptr 1
		.amdhsa_user_sgpr_dispatch_id 0
		.amdhsa_user_sgpr_kernarg_preload_length 0
		.amdhsa_user_sgpr_kernarg_preload_offset 0
		.amdhsa_user_sgpr_private_segment_size 0
		.amdhsa_wavefront_size32 1
		.amdhsa_uses_dynamic_stack 0
		.amdhsa_enable_private_segment 0
		.amdhsa_system_sgpr_workgroup_id_x 1
		.amdhsa_system_sgpr_workgroup_id_y 0
		.amdhsa_system_sgpr_workgroup_id_z 1
		.amdhsa_system_sgpr_workgroup_info 0
		.amdhsa_system_vgpr_workitem_id 0
		.amdhsa_next_free_vgpr 26
		.amdhsa_next_free_sgpr 22
		.amdhsa_named_barrier_count 0
		.amdhsa_reserve_vcc 1
		.amdhsa_float_round_mode_32 0
		.amdhsa_float_round_mode_16_64 0
		.amdhsa_float_denorm_mode_32 3
		.amdhsa_float_denorm_mode_16_64 3
		.amdhsa_fp16_overflow 0
		.amdhsa_memory_ordered 1
		.amdhsa_forward_progress 1
		.amdhsa_inst_pref_size 17
		.amdhsa_round_robin_scheduling 0
		.amdhsa_exception_fp_ieee_invalid_op 0
		.amdhsa_exception_fp_denorm_src 0
		.amdhsa_exception_fp_ieee_div_zero 0
		.amdhsa_exception_fp_ieee_overflow 0
		.amdhsa_exception_fp_ieee_underflow 0
		.amdhsa_exception_fp_ieee_inexact 0
		.amdhsa_exception_int_div_zero 0
	.end_amdhsa_kernel
	.section	.text._ZL35rocblas_iamax_iamin_kernel_part1_64ILi1024E26rocblas_fetch_amax_amin_64IfE22rocblas_reduce_amin_64PK19rocblas_complex_numIfE24rocblas_index_64_value_tIfEEvlT2_lllPT3_,"axG",@progbits,_ZL35rocblas_iamax_iamin_kernel_part1_64ILi1024E26rocblas_fetch_amax_amin_64IfE22rocblas_reduce_amin_64PK19rocblas_complex_numIfE24rocblas_index_64_value_tIfEEvlT2_lllPT3_,comdat
.Lfunc_end14:
	.size	_ZL35rocblas_iamax_iamin_kernel_part1_64ILi1024E26rocblas_fetch_amax_amin_64IfE22rocblas_reduce_amin_64PK19rocblas_complex_numIfE24rocblas_index_64_value_tIfEEvlT2_lllPT3_, .Lfunc_end14-_ZL35rocblas_iamax_iamin_kernel_part1_64ILi1024E26rocblas_fetch_amax_amin_64IfE22rocblas_reduce_amin_64PK19rocblas_complex_numIfE24rocblas_index_64_value_tIfEEvlT2_lllPT3_
                                        ; -- End function
	.set _ZL35rocblas_iamax_iamin_kernel_part1_64ILi1024E26rocblas_fetch_amax_amin_64IfE22rocblas_reduce_amin_64PK19rocblas_complex_numIfE24rocblas_index_64_value_tIfEEvlT2_lllPT3_.num_vgpr, 26
	.set _ZL35rocblas_iamax_iamin_kernel_part1_64ILi1024E26rocblas_fetch_amax_amin_64IfE22rocblas_reduce_amin_64PK19rocblas_complex_numIfE24rocblas_index_64_value_tIfEEvlT2_lllPT3_.num_agpr, 0
	.set _ZL35rocblas_iamax_iamin_kernel_part1_64ILi1024E26rocblas_fetch_amax_amin_64IfE22rocblas_reduce_amin_64PK19rocblas_complex_numIfE24rocblas_index_64_value_tIfEEvlT2_lllPT3_.numbered_sgpr, 22
	.set _ZL35rocblas_iamax_iamin_kernel_part1_64ILi1024E26rocblas_fetch_amax_amin_64IfE22rocblas_reduce_amin_64PK19rocblas_complex_numIfE24rocblas_index_64_value_tIfEEvlT2_lllPT3_.num_named_barrier, 0
	.set _ZL35rocblas_iamax_iamin_kernel_part1_64ILi1024E26rocblas_fetch_amax_amin_64IfE22rocblas_reduce_amin_64PK19rocblas_complex_numIfE24rocblas_index_64_value_tIfEEvlT2_lllPT3_.private_seg_size, 0
	.set _ZL35rocblas_iamax_iamin_kernel_part1_64ILi1024E26rocblas_fetch_amax_amin_64IfE22rocblas_reduce_amin_64PK19rocblas_complex_numIfE24rocblas_index_64_value_tIfEEvlT2_lllPT3_.uses_vcc, 1
	.set _ZL35rocblas_iamax_iamin_kernel_part1_64ILi1024E26rocblas_fetch_amax_amin_64IfE22rocblas_reduce_amin_64PK19rocblas_complex_numIfE24rocblas_index_64_value_tIfEEvlT2_lllPT3_.uses_flat_scratch, 0
	.set _ZL35rocblas_iamax_iamin_kernel_part1_64ILi1024E26rocblas_fetch_amax_amin_64IfE22rocblas_reduce_amin_64PK19rocblas_complex_numIfE24rocblas_index_64_value_tIfEEvlT2_lllPT3_.has_dyn_sized_stack, 0
	.set _ZL35rocblas_iamax_iamin_kernel_part1_64ILi1024E26rocblas_fetch_amax_amin_64IfE22rocblas_reduce_amin_64PK19rocblas_complex_numIfE24rocblas_index_64_value_tIfEEvlT2_lllPT3_.has_recursion, 0
	.set _ZL35rocblas_iamax_iamin_kernel_part1_64ILi1024E26rocblas_fetch_amax_amin_64IfE22rocblas_reduce_amin_64PK19rocblas_complex_numIfE24rocblas_index_64_value_tIfEEvlT2_lllPT3_.has_indirect_call, 0
	.section	.AMDGPU.csdata,"",@progbits
; Kernel info:
; codeLenInByte = 2104
; TotalNumSgprs: 24
; NumVgprs: 26
; ScratchSize: 0
; MemoryBound: 0
; FloatMode: 240
; IeeeMode: 1
; LDSByteSize: 512 bytes/workgroup (compile time only)
; SGPRBlocks: 0
; VGPRBlocks: 1
; NumSGPRsForWavesPerEU: 24
; NumVGPRsForWavesPerEU: 26
; NamedBarCnt: 0
; Occupancy: 16
; WaveLimiterHint : 0
; COMPUTE_PGM_RSRC2:SCRATCH_EN: 0
; COMPUTE_PGM_RSRC2:USER_SGPR: 2
; COMPUTE_PGM_RSRC2:TRAP_HANDLER: 0
; COMPUTE_PGM_RSRC2:TGID_X_EN: 1
; COMPUTE_PGM_RSRC2:TGID_Y_EN: 0
; COMPUTE_PGM_RSRC2:TGID_Z_EN: 1
; COMPUTE_PGM_RSRC2:TIDIG_COMP_CNT: 0
	.section	.text._ZL35rocblas_iamax_iamin_kernel_part1_64ILi1024E26rocblas_fetch_amax_amin_64IdE22rocblas_reduce_amin_64PK19rocblas_complex_numIdE24rocblas_index_64_value_tIdEEvlT2_lllPT3_,"axG",@progbits,_ZL35rocblas_iamax_iamin_kernel_part1_64ILi1024E26rocblas_fetch_amax_amin_64IdE22rocblas_reduce_amin_64PK19rocblas_complex_numIdE24rocblas_index_64_value_tIdEEvlT2_lllPT3_,comdat
	.globl	_ZL35rocblas_iamax_iamin_kernel_part1_64ILi1024E26rocblas_fetch_amax_amin_64IdE22rocblas_reduce_amin_64PK19rocblas_complex_numIdE24rocblas_index_64_value_tIdEEvlT2_lllPT3_ ; -- Begin function _ZL35rocblas_iamax_iamin_kernel_part1_64ILi1024E26rocblas_fetch_amax_amin_64IdE22rocblas_reduce_amin_64PK19rocblas_complex_numIdE24rocblas_index_64_value_tIdEEvlT2_lllPT3_
	.p2align	8
	.type	_ZL35rocblas_iamax_iamin_kernel_part1_64ILi1024E26rocblas_fetch_amax_amin_64IdE22rocblas_reduce_amin_64PK19rocblas_complex_numIdE24rocblas_index_64_value_tIdEEvlT2_lllPT3_,@function
_ZL35rocblas_iamax_iamin_kernel_part1_64ILi1024E26rocblas_fetch_amax_amin_64IdE22rocblas_reduce_amin_64PK19rocblas_complex_numIdE24rocblas_index_64_value_tIdEEvlT2_lllPT3_: ; @_ZL35rocblas_iamax_iamin_kernel_part1_64ILi1024E26rocblas_fetch_amax_amin_64IdE22rocblas_reduce_amin_64PK19rocblas_complex_numIdE24rocblas_index_64_value_tIdEEvlT2_lllPT3_
; %bb.0:
	s_clause 0x1
	s_load_b256 s[8:15], s[0:1], 0x0
	s_load_b128 s[4:7], s[0:1], 0x20
	s_bfe_u32 s2, ttmp6, 0x40014
	s_lshr_b32 s3, ttmp7, 16
	s_add_co_i32 s2, s2, 1
	s_bfe_u32 s17, ttmp6, 0x4000c
	s_mul_i32 s2, s3, s2
	s_bfe_u32 s16, ttmp6, 0x40008
	s_add_co_i32 s17, s17, 1
	s_add_co_i32 s16, s16, s2
	s_and_b32 s2, ttmp6, 15
	s_mul_i32 s17, ttmp9, s17
	s_getreg_b32 s18, hwreg(HW_REG_IB_STS2, 6, 4)
	s_add_co_i32 s2, s2, s17
	s_cmp_eq_u32 s18, 0
	s_mov_b32 s17, 0
	s_cselect_b32 s18, ttmp9, s2
	s_cselect_b32 s16, s3, s16
	s_wait_kmcnt 0x0
	v_cmp_lt_i64_e64 s19, s[8:9], 1
	s_and_b32 vcc_lo, exec_lo, s19
	s_cbranch_vccnz .LBB15_53
; %bb.1:
	v_dual_mov_b32 v2, 0 :: v_dual_bitop2_b32 v3, 31, v0 bitop3:0x40
	v_lshl_or_b32 v18, s18, 10, v0
	v_mbcnt_lo_u32_b32 v6, -1, 0
	s_load_b32 s19, s[0:1], 0x30
	s_delay_alu instid0(VALU_DEP_3) | instskip(SKIP_1) | instid1(VALU_DEP_2)
	v_dual_mov_b32 v19, v2 :: v_dual_lshrrev_b32 v8, 1, v0
	s_mul_u64 s[4:5], s[4:5], s[16:17]
	v_cmp_gt_u32_e64 s3, 24, v6
	s_lshl_b64 s[12:13], s[12:13], 4
	v_mul_u64_e32 v[4:5], s[14:15], v[18:19]
	s_lshl_b64 s[4:5], s[4:5], 4
	s_add_nc_u64 s[12:13], s[10:11], s[12:13]
	v_cndmask_b32_e64 v7, 0, 8, s3
	v_cmp_gt_u32_e64 s3, 28, v6
	s_add_nc_u64 s[4:5], s[12:13], s[4:5]
	v_cmp_ne_u32_e32 vcc_lo, 0, v0
	v_lshl_or_b32 v24, v6, 2, 64
	v_add_lshl_u32 v25, v7, v6, 2
	v_cndmask_b32_e64 v9, 0, 4, s3
	v_cmp_gt_u32_e64 s3, 30, v6
	s_mov_b32 s11, s17
	v_cmp_gt_u32_e64 s2, 32, v0
	v_lshlrev_b32_e32 v1, 4, v3
	v_add_lshl_u32 v26, v9, v6, 2
	v_cndmask_b32_e64 v10, 0, 2, s3
	v_cmp_ne_u32_e64 s3, 31, v6
	s_wait_kmcnt 0x0
	s_lshl_b32 s10, s19, 10
	v_and_b32_e32 v29, 0x1f0, v8
	s_xor_b32 s19, vcc_lo, -1
	v_add_lshl_u32 v27, v10, v6, 2
	v_add_co_ci_u32_e64 v11, null, 0, v6, s3
	v_mov_b64_e32 v[6:7], 0
	v_cmp_eq_u32_e64 s3, 0, v3
                                        ; implicit-def: $vgpr12_vgpr13
	s_delay_alu instid0(VALU_DEP_3) | instskip(SKIP_4) | instid1(VALU_DEP_1)
	v_lshlrev_b32_e32 v28, 2, v11
	v_lshl_add_u64 v[4:5], v[4:5], 4, s[4:5]
	s_mul_u64 s[4:5], s[14:15], s[10:11]
	s_mov_b64 s[14:15], 0
	s_lshl_b64 s[12:13], s[4:5], 4
	v_add_nc_u64_e32 v[20:21], 8, v[4:5]
	s_branch .LBB15_4
.LBB15_2:                               ;   in Loop: Header=BB15_4 Depth=1
	s_or_b32 exec_lo, exec_lo, s4
	s_delay_alu instid0(VALU_DEP_2) | instskip(NEXT) | instid1(VALU_DEP_2)
	v_mov_b64_e32 v[6:7], v[10:11]
	v_mov_b64_e32 v[8:9], v[4:5]
.LBB15_3:                               ;   in Loop: Header=BB15_4 Depth=1
	s_or_b32 exec_lo, exec_lo, s5
	s_add_nc_u64 s[14:15], s[14:15], s[10:11]
	v_add_nc_u64_e32 v[20:21], s[12:13], v[20:21]
	v_cmp_ge_i64_e64 s4, s[14:15], s[8:9]
	s_and_b32 vcc_lo, exec_lo, s4
	s_cbranch_vccnz .LBB15_54
.LBB15_4:                               ; =>This Inner Loop Header: Depth=1
	v_add_nc_u64_e32 v[4:5], s[14:15], v[18:19]
	v_mov_b64_e32 v[14:15], 0
	s_mov_b32 s4, exec_lo
	s_delay_alu instid0(VALU_DEP_2)
	v_cmpx_gt_i64_e64 s[8:9], v[4:5]
	s_cbranch_execz .LBB15_6
; %bb.5:                                ;   in Loop: Header=BB15_4 Depth=1
	global_load_b128 v[10:13], v[20:21], off offset:-8
	s_wait_loadcnt 0x0
	v_cmp_gt_f64_e32 vcc_lo, 0, v[10:11]
	v_xor_b32_e32 v3, 0x80000000, v11
	v_xor_b32_e32 v14, 0x80000000, v13
	s_delay_alu instid0(VALU_DEP_2) | instskip(SKIP_1) | instid1(VALU_DEP_3)
	v_cndmask_b32_e32 v11, v11, v3, vcc_lo
	v_cmp_gt_f64_e32 vcc_lo, 0, v[12:13]
	v_cndmask_b32_e32 v13, v13, v14, vcc_lo
	v_add_nc_u64_e32 v[14:15], 1, v[4:5]
	s_delay_alu instid0(VALU_DEP_2)
	v_add_f64_e32 v[12:13], v[10:11], v[12:13]
.LBB15_6:                               ;   in Loop: Header=BB15_4 Depth=1
	s_or_b32 exec_lo, exec_lo, s4
	s_and_saveexec_b32 s4, s2
; %bb.7:                                ;   in Loop: Header=BB15_4 Depth=1
	v_dual_mov_b32 v3, v2 :: v_dual_mov_b32 v4, v2
	v_mov_b32_e32 v5, v2
	ds_store_b128 v1, v[2:5]
; %bb.8:                                ;   in Loop: Header=BB15_4 Depth=1
	s_or_b32 exec_lo, exec_lo, s4
	ds_bpermute_b32 v4, v24, v14
	ds_bpermute_b32 v5, v24, v15
	;; [unrolled: 1-line block ×4, first 2 shown]
	v_mov_b64_e32 v[16:17], v[12:13]
	s_mov_b32 s5, exec_lo
	s_wait_dscnt 0x0
	s_barrier_signal -1
	s_barrier_wait -1
	v_cmpx_ne_u64_e32 0, v[4:5]
	s_cbranch_execz .LBB15_12
; %bb.9:                                ;   in Loop: Header=BB15_4 Depth=1
	v_cmp_ngt_f64_e32 vcc_lo, v[12:13], v[10:11]
	v_cmp_ne_u64_e64 s4, 0, v[14:15]
	v_mov_b64_e32 v[16:17], v[10:11]
	s_and_b32 s20, s4, vcc_lo
	s_delay_alu instid0(SALU_CYCLE_1)
	s_and_saveexec_b32 s4, s20
	s_cbranch_execz .LBB15_11
; %bb.10:                               ;   in Loop: Header=BB15_4 Depth=1
	v_min_i64 v[4:5], v[4:5], v[14:15]
	v_cmp_eq_f64_e32 vcc_lo, v[12:13], v[10:11]
	v_mov_b64_e32 v[16:17], v[12:13]
	v_dual_mov_b32 v10, v12 :: v_dual_mov_b32 v11, v13
	s_delay_alu instid0(VALU_DEP_4)
	v_dual_cndmask_b32 v4, v14, v4 :: v_dual_cndmask_b32 v5, v15, v5
.LBB15_11:                              ;   in Loop: Header=BB15_4 Depth=1
	s_or_b32 exec_lo, exec_lo, s4
	s_delay_alu instid0(VALU_DEP_1) | instskip(NEXT) | instid1(VALU_DEP_3)
	v_mov_b64_e32 v[14:15], v[4:5]
	v_dual_mov_b32 v13, v11 :: v_dual_mov_b32 v12, v10
.LBB15_12:                              ;   in Loop: Header=BB15_4 Depth=1
	s_or_b32 exec_lo, exec_lo, s5
	ds_bpermute_b32 v4, v25, v14
	ds_bpermute_b32 v5, v25, v15
	;; [unrolled: 1-line block ×4, first 2 shown]
	s_mov_b32 s5, exec_lo
	s_wait_dscnt 0x2
	v_cmpx_ne_u64_e32 0, v[4:5]
	s_cbranch_execz .LBB15_16
; %bb.13:                               ;   in Loop: Header=BB15_4 Depth=1
	s_wait_dscnt 0x0
	v_cmp_ngt_f64_e32 vcc_lo, v[16:17], v[10:11]
	v_cmp_ne_u64_e64 s4, 0, v[14:15]
	v_mov_b64_e32 v[22:23], v[10:11]
	s_and_b32 s20, s4, vcc_lo
	s_delay_alu instid0(SALU_CYCLE_1)
	s_and_saveexec_b32 s4, s20
	s_cbranch_execz .LBB15_15
; %bb.14:                               ;   in Loop: Header=BB15_4 Depth=1
	v_min_i64 v[4:5], v[4:5], v[14:15]
	v_cmp_eq_f64_e32 vcc_lo, v[16:17], v[10:11]
	v_mov_b64_e32 v[22:23], v[16:17]
	v_dual_mov_b32 v10, v12 :: v_dual_mov_b32 v11, v13
	s_delay_alu instid0(VALU_DEP_4)
	v_dual_cndmask_b32 v4, v14, v4 :: v_dual_cndmask_b32 v5, v15, v5
.LBB15_15:                              ;   in Loop: Header=BB15_4 Depth=1
	s_or_b32 exec_lo, exec_lo, s4
	s_delay_alu instid0(VALU_DEP_1) | instskip(NEXT) | instid1(VALU_DEP_2)
	v_mov_b64_e32 v[14:15], v[4:5]
	v_mov_b64_e32 v[16:17], v[22:23]
	v_dual_mov_b32 v13, v11 :: v_dual_mov_b32 v12, v10
.LBB15_16:                              ;   in Loop: Header=BB15_4 Depth=1
	s_or_b32 exec_lo, exec_lo, s5
	ds_bpermute_b32 v4, v26, v14
	ds_bpermute_b32 v5, v26, v15
	s_wait_dscnt 0x3
	ds_bpermute_b32 v10, v26, v12
	s_wait_dscnt 0x3
	ds_bpermute_b32 v11, v26, v13
	s_mov_b32 s5, exec_lo
	s_wait_dscnt 0x2
	v_cmpx_ne_u64_e32 0, v[4:5]
	s_cbranch_execz .LBB15_20
; %bb.17:                               ;   in Loop: Header=BB15_4 Depth=1
	s_wait_dscnt 0x0
	v_cmp_ngt_f64_e32 vcc_lo, v[16:17], v[10:11]
	v_cmp_ne_u64_e64 s4, 0, v[14:15]
	v_mov_b64_e32 v[22:23], v[10:11]
	s_and_b32 s20, s4, vcc_lo
	s_delay_alu instid0(SALU_CYCLE_1)
	s_and_saveexec_b32 s4, s20
	s_cbranch_execz .LBB15_19
; %bb.18:                               ;   in Loop: Header=BB15_4 Depth=1
	v_min_i64 v[4:5], v[4:5], v[14:15]
	v_cmp_eq_f64_e32 vcc_lo, v[16:17], v[10:11]
	v_mov_b64_e32 v[22:23], v[16:17]
	v_dual_mov_b32 v10, v12 :: v_dual_mov_b32 v11, v13
	s_delay_alu instid0(VALU_DEP_4)
	v_dual_cndmask_b32 v4, v14, v4 :: v_dual_cndmask_b32 v5, v15, v5
.LBB15_19:                              ;   in Loop: Header=BB15_4 Depth=1
	s_or_b32 exec_lo, exec_lo, s4
	s_delay_alu instid0(VALU_DEP_1) | instskip(NEXT) | instid1(VALU_DEP_2)
	v_mov_b64_e32 v[14:15], v[4:5]
	v_mov_b64_e32 v[16:17], v[22:23]
	v_dual_mov_b32 v13, v11 :: v_dual_mov_b32 v12, v10
.LBB15_20:                              ;   in Loop: Header=BB15_4 Depth=1
	s_or_b32 exec_lo, exec_lo, s5
	ds_bpermute_b32 v4, v27, v14
	ds_bpermute_b32 v5, v27, v15
	s_wait_dscnt 0x3
	ds_bpermute_b32 v10, v27, v12
	s_wait_dscnt 0x3
	ds_bpermute_b32 v11, v27, v13
	s_mov_b32 s5, exec_lo
	s_wait_dscnt 0x2
	v_cmpx_ne_u64_e32 0, v[4:5]
	s_cbranch_execz .LBB15_24
; %bb.21:                               ;   in Loop: Header=BB15_4 Depth=1
	s_wait_dscnt 0x0
	v_cmp_ngt_f64_e32 vcc_lo, v[16:17], v[10:11]
	v_cmp_ne_u64_e64 s4, 0, v[14:15]
	v_mov_b64_e32 v[22:23], v[10:11]
	s_and_b32 s20, s4, vcc_lo
	s_delay_alu instid0(SALU_CYCLE_1)
	s_and_saveexec_b32 s4, s20
	s_cbranch_execz .LBB15_23
; %bb.22:                               ;   in Loop: Header=BB15_4 Depth=1
	v_min_i64 v[4:5], v[4:5], v[14:15]
	v_cmp_eq_f64_e32 vcc_lo, v[16:17], v[10:11]
	v_mov_b64_e32 v[22:23], v[16:17]
	v_dual_mov_b32 v10, v12 :: v_dual_mov_b32 v11, v13
	s_delay_alu instid0(VALU_DEP_4)
	v_dual_cndmask_b32 v4, v14, v4 :: v_dual_cndmask_b32 v5, v15, v5
.LBB15_23:                              ;   in Loop: Header=BB15_4 Depth=1
	s_or_b32 exec_lo, exec_lo, s4
	s_delay_alu instid0(VALU_DEP_1) | instskip(NEXT) | instid1(VALU_DEP_2)
	v_mov_b64_e32 v[14:15], v[4:5]
	v_mov_b64_e32 v[16:17], v[22:23]
	v_dual_mov_b32 v13, v11 :: v_dual_mov_b32 v12, v10
.LBB15_24:                              ;   in Loop: Header=BB15_4 Depth=1
	s_or_b32 exec_lo, exec_lo, s5
	s_wait_dscnt 0x1
	ds_bpermute_b32 v10, v28, v14
	s_wait_dscnt 0x1
	ds_bpermute_b32 v11, v28, v15
	ds_bpermute_b32 v4, v28, v12
	;; [unrolled: 1-line block ×3, first 2 shown]
	s_mov_b32 s20, exec_lo
	s_wait_dscnt 0x2
	v_cmpx_ne_u64_e32 0, v[10:11]
	s_cbranch_execz .LBB15_26
; %bb.25:                               ;   in Loop: Header=BB15_4 Depth=1
	v_min_i64 v[22:23], v[10:11], v[14:15]
	s_wait_dscnt 0x0
	v_mov_b32_e32 v5, v12
	v_cmp_eq_u64_e64 s5, 0, v[14:15]
	s_delay_alu instid0(VALU_DEP_2) | instskip(NEXT) | instid1(VALU_DEP_4)
	v_cmp_eq_f64_e32 vcc_lo, v[16:17], v[4:5]
	v_cndmask_b32_e32 v3, v14, v22, vcc_lo
	v_cmp_gt_f64_e64 s4, v[16:17], v[4:5]
	v_cndmask_b32_e32 v5, v15, v23, vcc_lo
	s_or_b32 vcc_lo, s5, s4
	v_dual_cndmask_b32 v14, v3, v10 :: v_dual_cndmask_b32 v17, v17, v12
	s_delay_alu instid0(VALU_DEP_2)
	v_dual_cndmask_b32 v15, v5, v11 :: v_dual_cndmask_b32 v16, v16, v4
.LBB15_26:                              ;   in Loop: Header=BB15_4 Depth=1
	s_or_b32 exec_lo, exec_lo, s20
	s_and_saveexec_b32 s4, s3
; %bb.27:                               ;   in Loop: Header=BB15_4 Depth=1
	ds_store_b128 v29, v[14:17]
; %bb.28:                               ;   in Loop: Header=BB15_4 Depth=1
	s_or_b32 exec_lo, exec_lo, s4
	s_wait_dscnt 0x0
	v_mov_b64_e32 v[12:13], 0
	v_mov_b64_e32 v[10:11], 0
	s_barrier_signal -1
	s_barrier_wait -1
	s_and_saveexec_b32 s4, s2
; %bb.29:                               ;   in Loop: Header=BB15_4 Depth=1
	ds_load_b128 v[10:13], v1
; %bb.30:                               ;   in Loop: Header=BB15_4 Depth=1
	s_or_b32 exec_lo, exec_lo, s4
	s_and_saveexec_b32 s20, s2
	s_cbranch_execz .LBB15_50
; %bb.31:                               ;   in Loop: Header=BB15_4 Depth=1
	s_wait_dscnt 0x0
	ds_bpermute_b32 v14, v24, v10
	ds_bpermute_b32 v15, v24, v11
	;; [unrolled: 1-line block ×4, first 2 shown]
	v_mov_b64_e32 v[4:5], v[12:13]
	s_mov_b32 s5, exec_lo
	s_wait_dscnt 0x2
	v_cmpx_ne_u64_e32 0, v[14:15]
	s_cbranch_execz .LBB15_35
; %bb.32:                               ;   in Loop: Header=BB15_4 Depth=1
	s_wait_dscnt 0x0
	v_cmp_ngt_f64_e32 vcc_lo, v[12:13], v[16:17]
	v_cmp_ne_u64_e64 s4, 0, v[10:11]
	v_mov_b64_e32 v[4:5], v[16:17]
	s_and_b32 s21, s4, vcc_lo
	s_delay_alu instid0(SALU_CYCLE_1)
	s_and_saveexec_b32 s4, s21
	s_cbranch_execz .LBB15_34
; %bb.33:                               ;   in Loop: Header=BB15_4 Depth=1
	v_min_i64 v[14:15], v[14:15], v[10:11]
	v_cmp_eq_f64_e32 vcc_lo, v[12:13], v[16:17]
	v_mov_b64_e32 v[4:5], v[12:13]
	v_dual_mov_b32 v16, v12 :: v_dual_mov_b32 v17, v13
	s_delay_alu instid0(VALU_DEP_4)
	v_dual_cndmask_b32 v14, v10, v14 :: v_dual_cndmask_b32 v15, v11, v15
.LBB15_34:                              ;   in Loop: Header=BB15_4 Depth=1
	s_or_b32 exec_lo, exec_lo, s4
	s_delay_alu instid0(VALU_DEP_1) | instskip(NEXT) | instid1(VALU_DEP_3)
	v_mov_b64_e32 v[10:11], v[14:15]
	v_dual_mov_b32 v13, v17 :: v_dual_mov_b32 v12, v16
.LBB15_35:                              ;   in Loop: Header=BB15_4 Depth=1
	s_or_b32 exec_lo, exec_lo, s5
	ds_bpermute_b32 v14, v25, v10
	ds_bpermute_b32 v15, v25, v11
	s_wait_dscnt 0x3
	ds_bpermute_b32 v16, v25, v12
	s_wait_dscnt 0x3
	ds_bpermute_b32 v17, v25, v13
	s_mov_b32 s5, exec_lo
	s_wait_dscnt 0x2
	v_cmpx_ne_u64_e32 0, v[14:15]
	s_cbranch_execz .LBB15_39
; %bb.36:                               ;   in Loop: Header=BB15_4 Depth=1
	s_wait_dscnt 0x0
	v_cmp_ngt_f64_e32 vcc_lo, v[4:5], v[16:17]
	v_cmp_ne_u64_e64 s4, 0, v[10:11]
	v_mov_b64_e32 v[22:23], v[16:17]
	s_and_b32 s21, s4, vcc_lo
	s_delay_alu instid0(SALU_CYCLE_1)
	s_and_saveexec_b32 s4, s21
	s_cbranch_execz .LBB15_38
; %bb.37:                               ;   in Loop: Header=BB15_4 Depth=1
	v_min_i64 v[14:15], v[14:15], v[10:11]
	v_cmp_eq_f64_e32 vcc_lo, v[4:5], v[16:17]
	v_mov_b64_e32 v[22:23], v[4:5]
	v_dual_mov_b32 v16, v12 :: v_dual_mov_b32 v17, v13
	s_delay_alu instid0(VALU_DEP_4)
	v_dual_cndmask_b32 v14, v10, v14 :: v_dual_cndmask_b32 v15, v11, v15
.LBB15_38:                              ;   in Loop: Header=BB15_4 Depth=1
	s_or_b32 exec_lo, exec_lo, s4
	s_delay_alu instid0(VALU_DEP_1) | instskip(NEXT) | instid1(VALU_DEP_2)
	v_mov_b64_e32 v[10:11], v[14:15]
	v_mov_b64_e32 v[4:5], v[22:23]
	v_dual_mov_b32 v13, v17 :: v_dual_mov_b32 v12, v16
.LBB15_39:                              ;   in Loop: Header=BB15_4 Depth=1
	s_or_b32 exec_lo, exec_lo, s5
	ds_bpermute_b32 v14, v26, v10
	ds_bpermute_b32 v15, v26, v11
	s_wait_dscnt 0x3
	ds_bpermute_b32 v16, v26, v12
	s_wait_dscnt 0x3
	ds_bpermute_b32 v17, v26, v13
	s_mov_b32 s5, exec_lo
	s_wait_dscnt 0x2
	v_cmpx_ne_u64_e32 0, v[14:15]
	s_cbranch_execz .LBB15_43
; %bb.40:                               ;   in Loop: Header=BB15_4 Depth=1
	s_wait_dscnt 0x0
	v_cmp_ngt_f64_e32 vcc_lo, v[4:5], v[16:17]
	v_cmp_ne_u64_e64 s4, 0, v[10:11]
	v_mov_b64_e32 v[22:23], v[16:17]
	s_and_b32 s21, s4, vcc_lo
	s_delay_alu instid0(SALU_CYCLE_1)
	s_and_saveexec_b32 s4, s21
	s_cbranch_execz .LBB15_42
; %bb.41:                               ;   in Loop: Header=BB15_4 Depth=1
	v_min_i64 v[14:15], v[14:15], v[10:11]
	v_cmp_eq_f64_e32 vcc_lo, v[4:5], v[16:17]
	v_mov_b64_e32 v[22:23], v[4:5]
	v_dual_mov_b32 v16, v12 :: v_dual_mov_b32 v17, v13
	s_delay_alu instid0(VALU_DEP_4)
	v_dual_cndmask_b32 v14, v10, v14 :: v_dual_cndmask_b32 v15, v11, v15
.LBB15_42:                              ;   in Loop: Header=BB15_4 Depth=1
	s_or_b32 exec_lo, exec_lo, s4
	s_delay_alu instid0(VALU_DEP_1) | instskip(NEXT) | instid1(VALU_DEP_2)
	v_mov_b64_e32 v[10:11], v[14:15]
	v_mov_b64_e32 v[4:5], v[22:23]
	v_dual_mov_b32 v13, v17 :: v_dual_mov_b32 v12, v16
.LBB15_43:                              ;   in Loop: Header=BB15_4 Depth=1
	;; [unrolled: 34-line block ×3, first 2 shown]
	s_or_b32 exec_lo, exec_lo, s5
	ds_bpermute_b32 v14, v28, v10
	ds_bpermute_b32 v15, v28, v11
	;; [unrolled: 1-line block ×3, first 2 shown]
	s_wait_dscnt 0x4
	ds_bpermute_b32 v16, v28, v13
	s_mov_b32 s21, exec_lo
	s_wait_dscnt 0x2
	v_cmpx_ne_u64_e32 0, v[14:15]
	s_cbranch_execz .LBB15_49
; %bb.48:                               ;   in Loop: Header=BB15_4 Depth=1
	v_min_i64 v[22:23], v[14:15], v[10:11]
	s_wait_dscnt 0x0
	v_mov_b32_e32 v13, v16
	v_cmp_eq_u64_e64 s5, 0, v[10:11]
	s_delay_alu instid0(VALU_DEP_2) | instskip(NEXT) | instid1(VALU_DEP_4)
	v_cmp_eq_f64_e32 vcc_lo, v[4:5], v[12:13]
	v_cndmask_b32_e32 v3, v10, v22, vcc_lo
	v_cmp_gt_f64_e64 s4, v[4:5], v[12:13]
	v_cndmask_b32_e32 v10, v11, v23, vcc_lo
	s_or_b32 vcc_lo, s5, s4
	s_delay_alu instid0(VALU_DEP_1) | instid1(SALU_CYCLE_1)
	v_dual_cndmask_b32 v5, v5, v16, vcc_lo :: v_dual_cndmask_b32 v11, v10, v15, vcc_lo
	v_dual_cndmask_b32 v10, v3, v14, vcc_lo :: v_dual_cndmask_b32 v4, v4, v12, vcc_lo
.LBB15_49:                              ;   in Loop: Header=BB15_4 Depth=1
	s_or_b32 exec_lo, exec_lo, s21
	s_wait_dscnt 0x1
	s_delay_alu instid0(VALU_DEP_1)
	v_mov_b64_e32 v[12:13], v[4:5]
.LBB15_50:                              ;   in Loop: Header=BB15_4 Depth=1
	s_or_b32 exec_lo, exec_lo, s20
	s_wait_dscnt 0x0
	v_cmp_ne_u64_e32 vcc_lo, 0, v[10:11]
	s_and_b32 s4, s19, vcc_lo
	s_delay_alu instid0(SALU_CYCLE_1)
	s_and_saveexec_b32 s5, s4
	s_cbranch_execz .LBB15_3
; %bb.51:                               ;   in Loop: Header=BB15_4 Depth=1
	v_cmp_nlt_f64_e32 vcc_lo, v[12:13], v[8:9]
	v_cmp_ne_u64_e64 s4, 0, v[6:7]
	v_mov_b64_e32 v[4:5], v[12:13]
	s_and_b32 s20, s4, vcc_lo
	s_delay_alu instid0(SALU_CYCLE_1)
	s_and_saveexec_b32 s4, s20
	s_cbranch_execz .LBB15_2
; %bb.52:                               ;   in Loop: Header=BB15_4 Depth=1
	v_min_i64 v[4:5], v[10:11], v[6:7]
	v_cmp_eq_f64_e32 vcc_lo, v[8:9], v[12:13]
	s_delay_alu instid0(VALU_DEP_2)
	v_dual_cndmask_b32 v11, v7, v5 :: v_dual_cndmask_b32 v10, v6, v4
	v_mov_b64_e32 v[4:5], v[8:9]
	s_branch .LBB15_2
.LBB15_53:
	v_mov_b64_e32 v[6:7], 0
.LBB15_54:
	s_mov_b32 s3, 0
	s_mov_b32 s2, exec_lo
	v_cmpx_eq_u32_e32 0, v0
	s_cbranch_execz .LBB15_56
; %bb.55:
	s_load_b32 s2, s[0:1], 0x30
	v_mov_b32_e32 v0, s18
	s_wait_kmcnt 0x0
	s_mul_u64 s[0:1], s[2:3], s[16:17]
	s_delay_alu instid0(SALU_CYCLE_1) | instskip(NEXT) | instid1(SALU_CYCLE_1)
	s_lshl_b64 s[0:1], s[0:1], 4
	s_add_nc_u64 s[0:1], s[6:7], s[0:1]
	global_store_b128 v0, v[6:9], s[0:1] scale_offset
.LBB15_56:
	s_endpgm
	.section	.rodata,"a",@progbits
	.p2align	6, 0x0
	.amdhsa_kernel _ZL35rocblas_iamax_iamin_kernel_part1_64ILi1024E26rocblas_fetch_amax_amin_64IdE22rocblas_reduce_amin_64PK19rocblas_complex_numIdE24rocblas_index_64_value_tIdEEvlT2_lllPT3_
		.amdhsa_group_segment_fixed_size 512
		.amdhsa_private_segment_fixed_size 0
		.amdhsa_kernarg_size 304
		.amdhsa_user_sgpr_count 2
		.amdhsa_user_sgpr_dispatch_ptr 0
		.amdhsa_user_sgpr_queue_ptr 0
		.amdhsa_user_sgpr_kernarg_segment_ptr 1
		.amdhsa_user_sgpr_dispatch_id 0
		.amdhsa_user_sgpr_kernarg_preload_length 0
		.amdhsa_user_sgpr_kernarg_preload_offset 0
		.amdhsa_user_sgpr_private_segment_size 0
		.amdhsa_wavefront_size32 1
		.amdhsa_uses_dynamic_stack 0
		.amdhsa_enable_private_segment 0
		.amdhsa_system_sgpr_workgroup_id_x 1
		.amdhsa_system_sgpr_workgroup_id_y 0
		.amdhsa_system_sgpr_workgroup_id_z 1
		.amdhsa_system_sgpr_workgroup_info 0
		.amdhsa_system_vgpr_workitem_id 0
		.amdhsa_next_free_vgpr 30
		.amdhsa_next_free_sgpr 22
		.amdhsa_named_barrier_count 0
		.amdhsa_reserve_vcc 1
		.amdhsa_float_round_mode_32 0
		.amdhsa_float_round_mode_16_64 0
		.amdhsa_float_denorm_mode_32 3
		.amdhsa_float_denorm_mode_16_64 3
		.amdhsa_fp16_overflow 0
		.amdhsa_memory_ordered 1
		.amdhsa_forward_progress 1
		.amdhsa_inst_pref_size 18
		.amdhsa_round_robin_scheduling 0
		.amdhsa_exception_fp_ieee_invalid_op 0
		.amdhsa_exception_fp_denorm_src 0
		.amdhsa_exception_fp_ieee_div_zero 0
		.amdhsa_exception_fp_ieee_overflow 0
		.amdhsa_exception_fp_ieee_underflow 0
		.amdhsa_exception_fp_ieee_inexact 0
		.amdhsa_exception_int_div_zero 0
	.end_amdhsa_kernel
	.section	.text._ZL35rocblas_iamax_iamin_kernel_part1_64ILi1024E26rocblas_fetch_amax_amin_64IdE22rocblas_reduce_amin_64PK19rocblas_complex_numIdE24rocblas_index_64_value_tIdEEvlT2_lllPT3_,"axG",@progbits,_ZL35rocblas_iamax_iamin_kernel_part1_64ILi1024E26rocblas_fetch_amax_amin_64IdE22rocblas_reduce_amin_64PK19rocblas_complex_numIdE24rocblas_index_64_value_tIdEEvlT2_lllPT3_,comdat
.Lfunc_end15:
	.size	_ZL35rocblas_iamax_iamin_kernel_part1_64ILi1024E26rocblas_fetch_amax_amin_64IdE22rocblas_reduce_amin_64PK19rocblas_complex_numIdE24rocblas_index_64_value_tIdEEvlT2_lllPT3_, .Lfunc_end15-_ZL35rocblas_iamax_iamin_kernel_part1_64ILi1024E26rocblas_fetch_amax_amin_64IdE22rocblas_reduce_amin_64PK19rocblas_complex_numIdE24rocblas_index_64_value_tIdEEvlT2_lllPT3_
                                        ; -- End function
	.set _ZL35rocblas_iamax_iamin_kernel_part1_64ILi1024E26rocblas_fetch_amax_amin_64IdE22rocblas_reduce_amin_64PK19rocblas_complex_numIdE24rocblas_index_64_value_tIdEEvlT2_lllPT3_.num_vgpr, 30
	.set _ZL35rocblas_iamax_iamin_kernel_part1_64ILi1024E26rocblas_fetch_amax_amin_64IdE22rocblas_reduce_amin_64PK19rocblas_complex_numIdE24rocblas_index_64_value_tIdEEvlT2_lllPT3_.num_agpr, 0
	.set _ZL35rocblas_iamax_iamin_kernel_part1_64ILi1024E26rocblas_fetch_amax_amin_64IdE22rocblas_reduce_amin_64PK19rocblas_complex_numIdE24rocblas_index_64_value_tIdEEvlT2_lllPT3_.numbered_sgpr, 22
	.set _ZL35rocblas_iamax_iamin_kernel_part1_64ILi1024E26rocblas_fetch_amax_amin_64IdE22rocblas_reduce_amin_64PK19rocblas_complex_numIdE24rocblas_index_64_value_tIdEEvlT2_lllPT3_.num_named_barrier, 0
	.set _ZL35rocblas_iamax_iamin_kernel_part1_64ILi1024E26rocblas_fetch_amax_amin_64IdE22rocblas_reduce_amin_64PK19rocblas_complex_numIdE24rocblas_index_64_value_tIdEEvlT2_lllPT3_.private_seg_size, 0
	.set _ZL35rocblas_iamax_iamin_kernel_part1_64ILi1024E26rocblas_fetch_amax_amin_64IdE22rocblas_reduce_amin_64PK19rocblas_complex_numIdE24rocblas_index_64_value_tIdEEvlT2_lllPT3_.uses_vcc, 1
	.set _ZL35rocblas_iamax_iamin_kernel_part1_64ILi1024E26rocblas_fetch_amax_amin_64IdE22rocblas_reduce_amin_64PK19rocblas_complex_numIdE24rocblas_index_64_value_tIdEEvlT2_lllPT3_.uses_flat_scratch, 0
	.set _ZL35rocblas_iamax_iamin_kernel_part1_64ILi1024E26rocblas_fetch_amax_amin_64IdE22rocblas_reduce_amin_64PK19rocblas_complex_numIdE24rocblas_index_64_value_tIdEEvlT2_lllPT3_.has_dyn_sized_stack, 0
	.set _ZL35rocblas_iamax_iamin_kernel_part1_64ILi1024E26rocblas_fetch_amax_amin_64IdE22rocblas_reduce_amin_64PK19rocblas_complex_numIdE24rocblas_index_64_value_tIdEEvlT2_lllPT3_.has_recursion, 0
	.set _ZL35rocblas_iamax_iamin_kernel_part1_64ILi1024E26rocblas_fetch_amax_amin_64IdE22rocblas_reduce_amin_64PK19rocblas_complex_numIdE24rocblas_index_64_value_tIdEEvlT2_lllPT3_.has_indirect_call, 0
	.section	.AMDGPU.csdata,"",@progbits
; Kernel info:
; codeLenInByte = 2272
; TotalNumSgprs: 24
; NumVgprs: 30
; ScratchSize: 0
; MemoryBound: 0
; FloatMode: 240
; IeeeMode: 1
; LDSByteSize: 512 bytes/workgroup (compile time only)
; SGPRBlocks: 0
; VGPRBlocks: 1
; NumSGPRsForWavesPerEU: 24
; NumVGPRsForWavesPerEU: 30
; NamedBarCnt: 0
; Occupancy: 16
; WaveLimiterHint : 0
; COMPUTE_PGM_RSRC2:SCRATCH_EN: 0
; COMPUTE_PGM_RSRC2:USER_SGPR: 2
; COMPUTE_PGM_RSRC2:TRAP_HANDLER: 0
; COMPUTE_PGM_RSRC2:TGID_X_EN: 1
; COMPUTE_PGM_RSRC2:TGID_Y_EN: 0
; COMPUTE_PGM_RSRC2:TGID_Z_EN: 1
; COMPUTE_PGM_RSRC2:TIDIG_COMP_CNT: 0
	.section	.text._ZL35rocblas_iamax_iamin_kernel_part1_64ILi1024E26rocblas_fetch_amax_amin_64IfE22rocblas_reduce_amin_64PKPKf24rocblas_index_64_value_tIfEEvlT2_lllPT3_,"axG",@progbits,_ZL35rocblas_iamax_iamin_kernel_part1_64ILi1024E26rocblas_fetch_amax_amin_64IfE22rocblas_reduce_amin_64PKPKf24rocblas_index_64_value_tIfEEvlT2_lllPT3_,comdat
	.globl	_ZL35rocblas_iamax_iamin_kernel_part1_64ILi1024E26rocblas_fetch_amax_amin_64IfE22rocblas_reduce_amin_64PKPKf24rocblas_index_64_value_tIfEEvlT2_lllPT3_ ; -- Begin function _ZL35rocblas_iamax_iamin_kernel_part1_64ILi1024E26rocblas_fetch_amax_amin_64IfE22rocblas_reduce_amin_64PKPKf24rocblas_index_64_value_tIfEEvlT2_lllPT3_
	.p2align	8
	.type	_ZL35rocblas_iamax_iamin_kernel_part1_64ILi1024E26rocblas_fetch_amax_amin_64IfE22rocblas_reduce_amin_64PKPKf24rocblas_index_64_value_tIfEEvlT2_lllPT3_,@function
_ZL35rocblas_iamax_iamin_kernel_part1_64ILi1024E26rocblas_fetch_amax_amin_64IfE22rocblas_reduce_amin_64PKPKf24rocblas_index_64_value_tIfEEvlT2_lllPT3_: ; @_ZL35rocblas_iamax_iamin_kernel_part1_64ILi1024E26rocblas_fetch_amax_amin_64IfE22rocblas_reduce_amin_64PKPKf24rocblas_index_64_value_tIfEEvlT2_lllPT3_
; %bb.0:
	s_load_b256 s[8:15], s[0:1], 0x0
	s_bfe_u32 s2, ttmp6, 0x40014
	s_lshr_b32 s3, ttmp7, 16
	s_add_co_i32 s2, s2, 1
	s_bfe_u32 s5, ttmp6, 0x4000c
	s_mul_i32 s2, s3, s2
	s_bfe_u32 s4, ttmp6, 0x40008
	s_add_co_i32 s5, s5, 1
	s_add_co_i32 s4, s4, s2
	s_and_b32 s2, ttmp6, 15
	s_mul_i32 s5, ttmp9, s5
	s_getreg_b32 s6, hwreg(HW_REG_IB_STS2, 6, 4)
	s_add_co_i32 s2, s2, s5
	s_cmp_eq_u32 s6, 0
	s_mov_b32 s17, 0
	s_cselect_b32 s6, ttmp9, s2
	s_cselect_b32 s16, s3, s4
	s_wait_kmcnt 0x0
	v_cmp_lt_i64_e64 s7, s[8:9], 1
	s_and_b32 vcc_lo, exec_lo, s7
	s_cbranch_vccnz .LBB16_53
; %bb.1:
	v_lshl_or_b32 v6, s6, 10, v0
	v_dual_mov_b32 v7, 0 :: v_dual_bitop2_b32 v2, 31, v0 bitop3:0x40
	v_mbcnt_lo_u32_b32 v3, -1, 0
	s_load_b64 s[4:5], s[10:11], s16 offset:0x0 scale_offset
	s_load_b32 s7, s[0:1], 0x30
	s_delay_alu instid0(VALU_DEP_2)
	v_mul_u64_e32 v[10:11], s[14:15], v[6:7]
	v_lshlrev_b32_e32 v1, 4, v2
	v_cmp_gt_u32_e32 vcc_lo, 24, v3
	s_lshl_b64 s[12:13], s[12:13], 2
	v_lshl_or_b32 v5, v3, 2, 64
	v_cmp_eq_u32_e64 s3, 0, v2
	s_wait_xcnt 0x0
	s_mov_b32 s11, s17
	v_cndmask_b32_e64 v4, 0, 8, vcc_lo
	v_cmp_gt_u32_e32 vcc_lo, 28, v3
	v_cmp_gt_u32_e64 s2, 32, v0
                                        ; implicit-def: $vgpr21
	s_delay_alu instid0(VALU_DEP_3) | instskip(SKIP_3) | instid1(VALU_DEP_3)
	v_add_lshl_u32 v16, v4, v3, 2
	v_cndmask_b32_e64 v8, 0, 4, vcc_lo
	v_cmp_gt_u32_e32 vcc_lo, 30, v3
	v_lshrrev_b32_e32 v4, 1, v0
	v_add_lshl_u32 v17, v8, v3, 2
	v_cndmask_b32_e64 v9, 0, 2, vcc_lo
	v_cmp_ne_u32_e32 vcc_lo, 31, v3
	s_delay_alu instid0(VALU_DEP_4)
	v_and_b32_e32 v20, 0x1f0, v4
	s_wait_kmcnt 0x0
	s_add_nc_u64 s[4:5], s[4:5], s[12:13]
	s_lshl_b32 s10, s7, 10
	v_add_lshl_u32 v18, v9, v3, 2
	v_add_co_ci_u32_e64 v12, null, 0, v3, vcc_lo
	v_cmp_ne_u32_e32 vcc_lo, 0, v0
	v_mov_b64_e32 v[8:9], 0
	v_mov_b64_e32 v[2:3], 0
	s_delay_alu instid0(VALU_DEP_4)
	v_lshlrev_b32_e32 v19, 2, v12
	s_mul_u64 s[12:13], s[14:15], s[10:11]
	v_lshl_add_u64 v[10:11], v[10:11], 2, s[4:5]
	s_lshl_b64 s[12:13], s[12:13], 2
	s_mov_b64 s[14:15], 0
	s_xor_b32 s7, vcc_lo, -1
	s_branch .LBB16_4
.LBB16_2:                               ;   in Loop: Header=BB16_4 Depth=1
	s_or_b32 exec_lo, exec_lo, s4
	s_delay_alu instid0(VALU_DEP_1)
	v_mov_b64_e32 v[2:3], v[12:13]
	v_mov_b32_e32 v4, v14
.LBB16_3:                               ;   in Loop: Header=BB16_4 Depth=1
	s_or_b32 exec_lo, exec_lo, s5
	s_add_nc_u64 s[14:15], s[14:15], s[10:11]
	v_add_nc_u64_e32 v[10:11], s[12:13], v[10:11]
	v_cmp_ge_i64_e64 s4, s[14:15], s[8:9]
	s_and_b32 vcc_lo, exec_lo, s4
	s_cbranch_vccnz .LBB16_54
.LBB16_4:                               ; =>This Inner Loop Header: Depth=1
	v_add_nc_u64_e32 v[14:15], s[14:15], v[6:7]
	v_mov_b64_e32 v[12:13], 0
	s_mov_b32 s4, exec_lo
	s_delay_alu instid0(VALU_DEP_2)
	v_cmpx_gt_i64_e64 s[8:9], v[14:15]
	s_cbranch_execz .LBB16_6
; %bb.5:                                ;   in Loop: Header=BB16_4 Depth=1
	s_wait_dscnt 0x0
	flat_load_b32 v21, v[10:11]
	v_add_nc_u64_e32 v[12:13], 1, v[14:15]
	s_wait_loadcnt_dscnt 0x0
	v_cmp_gt_f32_e32 vcc_lo, 0, v21
	v_cndmask_b32_e64 v21, v21, -v21, vcc_lo
.LBB16_6:                               ;   in Loop: Header=BB16_4 Depth=1
	s_wait_xcnt 0x0
	s_or_b32 exec_lo, exec_lo, s4
	s_and_saveexec_b32 s4, s2
	s_cbranch_execz .LBB16_8
; %bb.7:                                ;   in Loop: Header=BB16_4 Depth=1
	ds_store_b64 v1, v[8:9]
	ds_store_b32 v1, v7 offset:8
.LBB16_8:                               ;   in Loop: Header=BB16_4 Depth=1
	s_or_b32 exec_lo, exec_lo, s4
	ds_bpermute_b32 v14, v5, v12
	ds_bpermute_b32 v15, v5, v13
	s_wait_dscnt 0x2
	ds_bpermute_b32 v23, v5, v21
	v_mov_b32_e32 v22, v21
	s_mov_b32 s5, exec_lo
	s_wait_dscnt 0x0
	s_barrier_signal -1
	s_barrier_wait -1
	v_cmpx_ne_u64_e32 0, v[14:15]
	s_cbranch_execz .LBB16_12
; %bb.9:                                ;   in Loop: Header=BB16_4 Depth=1
	v_cmp_ne_u64_e32 vcc_lo, 0, v[12:13]
	v_cmp_ngt_f32_e64 s4, v21, v23
	s_and_b32 s18, vcc_lo, s4
	s_delay_alu instid0(SALU_CYCLE_1)
	s_and_saveexec_b32 s4, s18
	s_cbranch_execz .LBB16_11
; %bb.10:                               ;   in Loop: Header=BB16_4 Depth=1
	v_min_i64 v[14:15], v[14:15], v[12:13]
	v_cmp_eq_f32_e32 vcc_lo, v21, v23
	v_mov_b32_e32 v23, v21
	s_delay_alu instid0(VALU_DEP_3)
	v_dual_cndmask_b32 v15, v13, v15 :: v_dual_cndmask_b32 v14, v12, v14
.LBB16_11:                              ;   in Loop: Header=BB16_4 Depth=1
	s_or_b32 exec_lo, exec_lo, s4
	s_delay_alu instid0(VALU_DEP_1) | instskip(NEXT) | instid1(VALU_DEP_3)
	v_mov_b64_e32 v[12:13], v[14:15]
	v_dual_mov_b32 v21, v23 :: v_dual_mov_b32 v22, v23
.LBB16_12:                              ;   in Loop: Header=BB16_4 Depth=1
	s_or_b32 exec_lo, exec_lo, s5
	ds_bpermute_b32 v14, v16, v12
	ds_bpermute_b32 v15, v16, v13
	;; [unrolled: 1-line block ×3, first 2 shown]
	s_mov_b32 s5, exec_lo
	s_wait_dscnt 0x1
	v_cmpx_ne_u64_e32 0, v[14:15]
	s_cbranch_execz .LBB16_16
; %bb.13:                               ;   in Loop: Header=BB16_4 Depth=1
	v_cmp_ne_u64_e32 vcc_lo, 0, v[12:13]
	s_wait_dscnt 0x0
	v_cmp_ngt_f32_e64 s4, v22, v23
	v_mov_b32_e32 v24, v23
	s_and_b32 s18, vcc_lo, s4
	s_delay_alu instid0(SALU_CYCLE_1)
	s_and_saveexec_b32 s4, s18
	s_cbranch_execz .LBB16_15
; %bb.14:                               ;   in Loop: Header=BB16_4 Depth=1
	v_min_i64 v[14:15], v[14:15], v[12:13]
	v_cmp_eq_f32_e32 vcc_lo, v22, v23
	v_dual_mov_b32 v24, v22 :: v_dual_mov_b32 v23, v21
	s_delay_alu instid0(VALU_DEP_3)
	v_dual_cndmask_b32 v14, v12, v14 :: v_dual_cndmask_b32 v15, v13, v15
.LBB16_15:                              ;   in Loop: Header=BB16_4 Depth=1
	s_or_b32 exec_lo, exec_lo, s4
	s_delay_alu instid0(VALU_DEP_1) | instskip(NEXT) | instid1(VALU_DEP_2)
	v_mov_b64_e32 v[12:13], v[14:15]
	v_dual_mov_b32 v21, v23 :: v_dual_mov_b32 v22, v24
.LBB16_16:                              ;   in Loop: Header=BB16_4 Depth=1
	s_or_b32 exec_lo, exec_lo, s5
	ds_bpermute_b32 v14, v17, v12
	ds_bpermute_b32 v15, v17, v13
	s_wait_dscnt 0x2
	ds_bpermute_b32 v23, v17, v21
	s_mov_b32 s5, exec_lo
	s_wait_dscnt 0x1
	v_cmpx_ne_u64_e32 0, v[14:15]
	s_cbranch_execz .LBB16_20
; %bb.17:                               ;   in Loop: Header=BB16_4 Depth=1
	v_cmp_ne_u64_e32 vcc_lo, 0, v[12:13]
	s_wait_dscnt 0x0
	v_cmp_ngt_f32_e64 s4, v22, v23
	v_mov_b32_e32 v24, v23
	s_and_b32 s18, vcc_lo, s4
	s_delay_alu instid0(SALU_CYCLE_1)
	s_and_saveexec_b32 s4, s18
	s_cbranch_execz .LBB16_19
; %bb.18:                               ;   in Loop: Header=BB16_4 Depth=1
	v_min_i64 v[14:15], v[14:15], v[12:13]
	v_cmp_eq_f32_e32 vcc_lo, v22, v23
	v_dual_mov_b32 v24, v22 :: v_dual_mov_b32 v23, v21
	s_delay_alu instid0(VALU_DEP_3)
	v_dual_cndmask_b32 v14, v12, v14 :: v_dual_cndmask_b32 v15, v13, v15
.LBB16_19:                              ;   in Loop: Header=BB16_4 Depth=1
	s_or_b32 exec_lo, exec_lo, s4
	s_delay_alu instid0(VALU_DEP_1) | instskip(NEXT) | instid1(VALU_DEP_2)
	v_mov_b64_e32 v[12:13], v[14:15]
	v_dual_mov_b32 v21, v23 :: v_dual_mov_b32 v22, v24
.LBB16_20:                              ;   in Loop: Header=BB16_4 Depth=1
	s_or_b32 exec_lo, exec_lo, s5
	ds_bpermute_b32 v14, v18, v12
	ds_bpermute_b32 v15, v18, v13
	s_wait_dscnt 0x2
	ds_bpermute_b32 v23, v18, v21
	s_mov_b32 s5, exec_lo
	s_wait_dscnt 0x1
	v_cmpx_ne_u64_e32 0, v[14:15]
	s_cbranch_execz .LBB16_24
; %bb.21:                               ;   in Loop: Header=BB16_4 Depth=1
	v_cmp_ne_u64_e32 vcc_lo, 0, v[12:13]
	s_wait_dscnt 0x0
	v_cmp_ngt_f32_e64 s4, v22, v23
	v_mov_b32_e32 v24, v23
	s_and_b32 s18, vcc_lo, s4
	s_delay_alu instid0(SALU_CYCLE_1)
	s_and_saveexec_b32 s4, s18
	s_cbranch_execz .LBB16_23
; %bb.22:                               ;   in Loop: Header=BB16_4 Depth=1
	v_min_i64 v[14:15], v[14:15], v[12:13]
	v_cmp_eq_f32_e32 vcc_lo, v22, v23
	v_dual_mov_b32 v24, v22 :: v_dual_mov_b32 v23, v21
	s_delay_alu instid0(VALU_DEP_3)
	v_dual_cndmask_b32 v14, v12, v14 :: v_dual_cndmask_b32 v15, v13, v15
.LBB16_23:                              ;   in Loop: Header=BB16_4 Depth=1
	s_or_b32 exec_lo, exec_lo, s4
	s_delay_alu instid0(VALU_DEP_1) | instskip(NEXT) | instid1(VALU_DEP_2)
	v_mov_b64_e32 v[12:13], v[14:15]
	v_dual_mov_b32 v21, v23 :: v_dual_mov_b32 v22, v24
.LBB16_24:                              ;   in Loop: Header=BB16_4 Depth=1
	s_or_b32 exec_lo, exec_lo, s5
	ds_bpermute_b32 v14, v19, v12
	ds_bpermute_b32 v15, v19, v13
	;; [unrolled: 1-line block ×3, first 2 shown]
	s_mov_b32 s18, exec_lo
	s_wait_dscnt 0x1
	v_cmpx_ne_u64_e32 0, v[14:15]
	s_cbranch_execz .LBB16_26
; %bb.25:                               ;   in Loop: Header=BB16_4 Depth=1
	v_min_i64 v[24:25], v[14:15], v[12:13]
	s_wait_dscnt 0x0
	v_cmp_eq_f32_e32 vcc_lo, v22, v21
	v_cmp_eq_u64_e64 s4, 0, v[12:13]
	v_cmp_gt_f32_e64 s5, v22, v21
	s_delay_alu instid0(VALU_DEP_4)
	v_dual_cndmask_b32 v12, v12, v24 :: v_dual_cndmask_b32 v13, v13, v25
	s_or_b32 vcc_lo, s4, s5
	s_delay_alu instid0(VALU_DEP_1) | instid1(SALU_CYCLE_1)
	v_dual_cndmask_b32 v22, v22, v21, vcc_lo :: v_dual_cndmask_b32 v12, v12, v14, vcc_lo
	s_delay_alu instid0(VALU_DEP_2)
	v_cndmask_b32_e32 v13, v13, v15, vcc_lo
.LBB16_26:                              ;   in Loop: Header=BB16_4 Depth=1
	s_or_b32 exec_lo, exec_lo, s18
	s_and_saveexec_b32 s4, s3
	s_cbranch_execz .LBB16_28
; %bb.27:                               ;   in Loop: Header=BB16_4 Depth=1
	ds_store_b64 v20, v[12:13]
	ds_store_b32 v20, v22 offset:8
.LBB16_28:                              ;   in Loop: Header=BB16_4 Depth=1
	s_or_b32 exec_lo, exec_lo, s4
	v_mov_b64_e32 v[12:13], 0
	s_wait_dscnt 0x0
	v_mov_b32_e32 v21, 0
	s_barrier_signal -1
	s_barrier_wait -1
	s_and_saveexec_b32 s4, s2
	s_cbranch_execz .LBB16_30
; %bb.29:                               ;   in Loop: Header=BB16_4 Depth=1
	ds_load_b64 v[12:13], v1
	ds_load_b32 v21, v1 offset:8
.LBB16_30:                              ;   in Loop: Header=BB16_4 Depth=1
	s_or_b32 exec_lo, exec_lo, s4
	s_and_saveexec_b32 s18, s2
	s_cbranch_execz .LBB16_50
; %bb.31:                               ;   in Loop: Header=BB16_4 Depth=1
	s_wait_dscnt 0x1
	ds_bpermute_b32 v14, v5, v12
	ds_bpermute_b32 v15, v5, v13
	s_wait_dscnt 0x2
	ds_bpermute_b32 v23, v5, v21
	v_mov_b32_e32 v22, v21
	s_mov_b32 s5, exec_lo
	s_wait_dscnt 0x1
	v_cmpx_ne_u64_e32 0, v[14:15]
	s_cbranch_execz .LBB16_35
; %bb.32:                               ;   in Loop: Header=BB16_4 Depth=1
	v_cmp_ne_u64_e32 vcc_lo, 0, v[12:13]
	s_wait_dscnt 0x0
	v_cmp_ngt_f32_e64 s4, v21, v23
	s_and_b32 s19, vcc_lo, s4
	s_delay_alu instid0(SALU_CYCLE_1)
	s_and_saveexec_b32 s4, s19
	s_cbranch_execz .LBB16_34
; %bb.33:                               ;   in Loop: Header=BB16_4 Depth=1
	v_min_i64 v[14:15], v[14:15], v[12:13]
	v_cmp_eq_f32_e32 vcc_lo, v21, v23
	v_mov_b32_e32 v23, v21
	s_delay_alu instid0(VALU_DEP_3)
	v_dual_cndmask_b32 v15, v13, v15 :: v_dual_cndmask_b32 v14, v12, v14
.LBB16_34:                              ;   in Loop: Header=BB16_4 Depth=1
	s_or_b32 exec_lo, exec_lo, s4
	s_delay_alu instid0(VALU_DEP_1) | instskip(NEXT) | instid1(VALU_DEP_3)
	v_mov_b64_e32 v[12:13], v[14:15]
	v_dual_mov_b32 v21, v23 :: v_dual_mov_b32 v22, v23
.LBB16_35:                              ;   in Loop: Header=BB16_4 Depth=1
	s_or_b32 exec_lo, exec_lo, s5
	ds_bpermute_b32 v14, v16, v12
	ds_bpermute_b32 v15, v16, v13
	s_wait_dscnt 0x2
	ds_bpermute_b32 v23, v16, v21
	s_mov_b32 s5, exec_lo
	s_wait_dscnt 0x1
	v_cmpx_ne_u64_e32 0, v[14:15]
	s_cbranch_execz .LBB16_39
; %bb.36:                               ;   in Loop: Header=BB16_4 Depth=1
	v_cmp_ne_u64_e32 vcc_lo, 0, v[12:13]
	s_wait_dscnt 0x0
	v_cmp_ngt_f32_e64 s4, v22, v23
	v_mov_b32_e32 v24, v23
	s_and_b32 s19, vcc_lo, s4
	s_delay_alu instid0(SALU_CYCLE_1)
	s_and_saveexec_b32 s4, s19
	s_cbranch_execz .LBB16_38
; %bb.37:                               ;   in Loop: Header=BB16_4 Depth=1
	v_min_i64 v[14:15], v[14:15], v[12:13]
	v_cmp_eq_f32_e32 vcc_lo, v22, v23
	v_dual_mov_b32 v24, v22 :: v_dual_mov_b32 v23, v21
	s_delay_alu instid0(VALU_DEP_3)
	v_dual_cndmask_b32 v14, v12, v14 :: v_dual_cndmask_b32 v15, v13, v15
.LBB16_38:                              ;   in Loop: Header=BB16_4 Depth=1
	s_or_b32 exec_lo, exec_lo, s4
	s_delay_alu instid0(VALU_DEP_1) | instskip(NEXT) | instid1(VALU_DEP_2)
	v_mov_b64_e32 v[12:13], v[14:15]
	v_dual_mov_b32 v21, v23 :: v_dual_mov_b32 v22, v24
.LBB16_39:                              ;   in Loop: Header=BB16_4 Depth=1
	s_or_b32 exec_lo, exec_lo, s5
	ds_bpermute_b32 v14, v17, v12
	ds_bpermute_b32 v15, v17, v13
	s_wait_dscnt 0x2
	ds_bpermute_b32 v23, v17, v21
	s_mov_b32 s5, exec_lo
	s_wait_dscnt 0x1
	v_cmpx_ne_u64_e32 0, v[14:15]
	s_cbranch_execz .LBB16_43
; %bb.40:                               ;   in Loop: Header=BB16_4 Depth=1
	v_cmp_ne_u64_e32 vcc_lo, 0, v[12:13]
	s_wait_dscnt 0x0
	v_cmp_ngt_f32_e64 s4, v22, v23
	v_mov_b32_e32 v24, v23
	s_and_b32 s19, vcc_lo, s4
	s_delay_alu instid0(SALU_CYCLE_1)
	s_and_saveexec_b32 s4, s19
	s_cbranch_execz .LBB16_42
; %bb.41:                               ;   in Loop: Header=BB16_4 Depth=1
	v_min_i64 v[14:15], v[14:15], v[12:13]
	v_cmp_eq_f32_e32 vcc_lo, v22, v23
	v_dual_mov_b32 v24, v22 :: v_dual_mov_b32 v23, v21
	s_delay_alu instid0(VALU_DEP_3)
	v_dual_cndmask_b32 v14, v12, v14 :: v_dual_cndmask_b32 v15, v13, v15
.LBB16_42:                              ;   in Loop: Header=BB16_4 Depth=1
	s_or_b32 exec_lo, exec_lo, s4
	s_delay_alu instid0(VALU_DEP_1) | instskip(NEXT) | instid1(VALU_DEP_2)
	v_mov_b64_e32 v[12:13], v[14:15]
	v_dual_mov_b32 v21, v23 :: v_dual_mov_b32 v22, v24
.LBB16_43:                              ;   in Loop: Header=BB16_4 Depth=1
	;; [unrolled: 30-line block ×3, first 2 shown]
	s_or_b32 exec_lo, exec_lo, s5
	ds_bpermute_b32 v14, v19, v12
	ds_bpermute_b32 v15, v19, v13
	;; [unrolled: 1-line block ×3, first 2 shown]
	s_mov_b32 s19, exec_lo
	s_wait_dscnt 0x1
	v_cmpx_ne_u64_e32 0, v[14:15]
	s_cbranch_execz .LBB16_49
; %bb.48:                               ;   in Loop: Header=BB16_4 Depth=1
	v_min_i64 v[24:25], v[14:15], v[12:13]
	s_wait_dscnt 0x0
	v_cmp_eq_f32_e32 vcc_lo, v22, v21
	v_cmp_eq_u64_e64 s4, 0, v[12:13]
	v_cmp_gt_f32_e64 s5, v22, v21
	s_delay_alu instid0(VALU_DEP_4)
	v_dual_cndmask_b32 v12, v12, v24 :: v_dual_cndmask_b32 v13, v13, v25
	s_or_b32 vcc_lo, s4, s5
	s_delay_alu instid0(VALU_DEP_1) | instid1(SALU_CYCLE_1)
	v_dual_cndmask_b32 v22, v22, v21, vcc_lo :: v_dual_cndmask_b32 v12, v12, v14, vcc_lo
	s_delay_alu instid0(VALU_DEP_2)
	v_cndmask_b32_e32 v13, v13, v15, vcc_lo
.LBB16_49:                              ;   in Loop: Header=BB16_4 Depth=1
	s_or_b32 exec_lo, exec_lo, s19
	s_wait_dscnt 0x0
	s_delay_alu instid0(VALU_DEP_2)
	v_mov_b32_e32 v21, v22
.LBB16_50:                              ;   in Loop: Header=BB16_4 Depth=1
	s_or_b32 exec_lo, exec_lo, s18
	s_wait_dscnt 0x1
	v_cmp_ne_u64_e32 vcc_lo, 0, v[12:13]
	s_and_b32 s4, s7, vcc_lo
	s_delay_alu instid0(SALU_CYCLE_1)
	s_and_saveexec_b32 s5, s4
	s_cbranch_execz .LBB16_3
; %bb.51:                               ;   in Loop: Header=BB16_4 Depth=1
	v_cmp_ne_u64_e32 vcc_lo, 0, v[2:3]
	s_wait_dscnt 0x0
	v_cmp_nlt_f32_e64 s4, v21, v4
	v_mov_b32_e32 v14, v21
	s_and_b32 s18, vcc_lo, s4
	s_delay_alu instid0(SALU_CYCLE_1)
	s_and_saveexec_b32 s4, s18
	s_cbranch_execz .LBB16_2
; %bb.52:                               ;   in Loop: Header=BB16_4 Depth=1
	v_min_i64 v[12:13], v[12:13], v[2:3]
	v_cmp_eq_f32_e32 vcc_lo, v4, v21
	s_delay_alu instid0(VALU_DEP_2) | instskip(NEXT) | instid1(VALU_DEP_3)
	v_dual_mov_b32 v14, v4 :: v_dual_cndmask_b32 v13, v3, v13
	v_cndmask_b32_e32 v12, v2, v12, vcc_lo
	s_branch .LBB16_2
.LBB16_53:
	v_mov_b64_e32 v[2:3], 0
.LBB16_54:
	s_mov_b32 s3, 0
	s_mov_b32 s2, exec_lo
	v_cmpx_eq_u32_e32 0, v0
	s_cbranch_execz .LBB16_56
; %bb.55:
	s_load_b96 s[8:10], s[0:1], 0x28
	s_mov_b32 s7, s3
	v_mov_b32_e32 v0, 0
	s_wait_kmcnt 0x0
	s_mov_b32 s2, s10
	s_delay_alu instid0(SALU_CYCLE_1) | instskip(SKIP_2) | instid1(SALU_CYCLE_1)
	s_mul_u64 s[0:1], s[2:3], s[16:17]
	s_lshl_b64 s[2:3], s[6:7], 4
	s_lshl_b64 s[0:1], s[0:1], 4
	s_add_nc_u64 s[0:1], s[8:9], s[0:1]
	s_delay_alu instid0(SALU_CYCLE_1)
	s_add_nc_u64 s[0:1], s[0:1], s[2:3]
	global_store_b96 v0, v[2:4], s[0:1]
.LBB16_56:
	s_endpgm
	.section	.rodata,"a",@progbits
	.p2align	6, 0x0
	.amdhsa_kernel _ZL35rocblas_iamax_iamin_kernel_part1_64ILi1024E26rocblas_fetch_amax_amin_64IfE22rocblas_reduce_amin_64PKPKf24rocblas_index_64_value_tIfEEvlT2_lllPT3_
		.amdhsa_group_segment_fixed_size 512
		.amdhsa_private_segment_fixed_size 0
		.amdhsa_kernarg_size 304
		.amdhsa_user_sgpr_count 2
		.amdhsa_user_sgpr_dispatch_ptr 0
		.amdhsa_user_sgpr_queue_ptr 0
		.amdhsa_user_sgpr_kernarg_segment_ptr 1
		.amdhsa_user_sgpr_dispatch_id 0
		.amdhsa_user_sgpr_kernarg_preload_length 0
		.amdhsa_user_sgpr_kernarg_preload_offset 0
		.amdhsa_user_sgpr_private_segment_size 0
		.amdhsa_wavefront_size32 1
		.amdhsa_uses_dynamic_stack 0
		.amdhsa_enable_private_segment 0
		.amdhsa_system_sgpr_workgroup_id_x 1
		.amdhsa_system_sgpr_workgroup_id_y 0
		.amdhsa_system_sgpr_workgroup_id_z 1
		.amdhsa_system_sgpr_workgroup_info 0
		.amdhsa_system_vgpr_workitem_id 0
		.amdhsa_next_free_vgpr 26
		.amdhsa_next_free_sgpr 20
		.amdhsa_named_barrier_count 0
		.amdhsa_reserve_vcc 1
		.amdhsa_float_round_mode_32 0
		.amdhsa_float_round_mode_16_64 0
		.amdhsa_float_denorm_mode_32 3
		.amdhsa_float_denorm_mode_16_64 3
		.amdhsa_fp16_overflow 0
		.amdhsa_memory_ordered 1
		.amdhsa_forward_progress 1
		.amdhsa_inst_pref_size 17
		.amdhsa_round_robin_scheduling 0
		.amdhsa_exception_fp_ieee_invalid_op 0
		.amdhsa_exception_fp_denorm_src 0
		.amdhsa_exception_fp_ieee_div_zero 0
		.amdhsa_exception_fp_ieee_overflow 0
		.amdhsa_exception_fp_ieee_underflow 0
		.amdhsa_exception_fp_ieee_inexact 0
		.amdhsa_exception_int_div_zero 0
	.end_amdhsa_kernel
	.section	.text._ZL35rocblas_iamax_iamin_kernel_part1_64ILi1024E26rocblas_fetch_amax_amin_64IfE22rocblas_reduce_amin_64PKPKf24rocblas_index_64_value_tIfEEvlT2_lllPT3_,"axG",@progbits,_ZL35rocblas_iamax_iamin_kernel_part1_64ILi1024E26rocblas_fetch_amax_amin_64IfE22rocblas_reduce_amin_64PKPKf24rocblas_index_64_value_tIfEEvlT2_lllPT3_,comdat
.Lfunc_end16:
	.size	_ZL35rocblas_iamax_iamin_kernel_part1_64ILi1024E26rocblas_fetch_amax_amin_64IfE22rocblas_reduce_amin_64PKPKf24rocblas_index_64_value_tIfEEvlT2_lllPT3_, .Lfunc_end16-_ZL35rocblas_iamax_iamin_kernel_part1_64ILi1024E26rocblas_fetch_amax_amin_64IfE22rocblas_reduce_amin_64PKPKf24rocblas_index_64_value_tIfEEvlT2_lllPT3_
                                        ; -- End function
	.set _ZL35rocblas_iamax_iamin_kernel_part1_64ILi1024E26rocblas_fetch_amax_amin_64IfE22rocblas_reduce_amin_64PKPKf24rocblas_index_64_value_tIfEEvlT2_lllPT3_.num_vgpr, 26
	.set _ZL35rocblas_iamax_iamin_kernel_part1_64ILi1024E26rocblas_fetch_amax_amin_64IfE22rocblas_reduce_amin_64PKPKf24rocblas_index_64_value_tIfEEvlT2_lllPT3_.num_agpr, 0
	.set _ZL35rocblas_iamax_iamin_kernel_part1_64ILi1024E26rocblas_fetch_amax_amin_64IfE22rocblas_reduce_amin_64PKPKf24rocblas_index_64_value_tIfEEvlT2_lllPT3_.numbered_sgpr, 20
	.set _ZL35rocblas_iamax_iamin_kernel_part1_64ILi1024E26rocblas_fetch_amax_amin_64IfE22rocblas_reduce_amin_64PKPKf24rocblas_index_64_value_tIfEEvlT2_lllPT3_.num_named_barrier, 0
	.set _ZL35rocblas_iamax_iamin_kernel_part1_64ILi1024E26rocblas_fetch_amax_amin_64IfE22rocblas_reduce_amin_64PKPKf24rocblas_index_64_value_tIfEEvlT2_lllPT3_.private_seg_size, 0
	.set _ZL35rocblas_iamax_iamin_kernel_part1_64ILi1024E26rocblas_fetch_amax_amin_64IfE22rocblas_reduce_amin_64PKPKf24rocblas_index_64_value_tIfEEvlT2_lllPT3_.uses_vcc, 1
	.set _ZL35rocblas_iamax_iamin_kernel_part1_64ILi1024E26rocblas_fetch_amax_amin_64IfE22rocblas_reduce_amin_64PKPKf24rocblas_index_64_value_tIfEEvlT2_lllPT3_.uses_flat_scratch, 0
	.set _ZL35rocblas_iamax_iamin_kernel_part1_64ILi1024E26rocblas_fetch_amax_amin_64IfE22rocblas_reduce_amin_64PKPKf24rocblas_index_64_value_tIfEEvlT2_lllPT3_.has_dyn_sized_stack, 0
	.set _ZL35rocblas_iamax_iamin_kernel_part1_64ILi1024E26rocblas_fetch_amax_amin_64IfE22rocblas_reduce_amin_64PKPKf24rocblas_index_64_value_tIfEEvlT2_lllPT3_.has_recursion, 0
	.set _ZL35rocblas_iamax_iamin_kernel_part1_64ILi1024E26rocblas_fetch_amax_amin_64IfE22rocblas_reduce_amin_64PKPKf24rocblas_index_64_value_tIfEEvlT2_lllPT3_.has_indirect_call, 0
	.section	.AMDGPU.csdata,"",@progbits
; Kernel info:
; codeLenInByte = 2088
; TotalNumSgprs: 22
; NumVgprs: 26
; ScratchSize: 0
; MemoryBound: 0
; FloatMode: 240
; IeeeMode: 1
; LDSByteSize: 512 bytes/workgroup (compile time only)
; SGPRBlocks: 0
; VGPRBlocks: 1
; NumSGPRsForWavesPerEU: 22
; NumVGPRsForWavesPerEU: 26
; NamedBarCnt: 0
; Occupancy: 16
; WaveLimiterHint : 0
; COMPUTE_PGM_RSRC2:SCRATCH_EN: 0
; COMPUTE_PGM_RSRC2:USER_SGPR: 2
; COMPUTE_PGM_RSRC2:TRAP_HANDLER: 0
; COMPUTE_PGM_RSRC2:TGID_X_EN: 1
; COMPUTE_PGM_RSRC2:TGID_Y_EN: 0
; COMPUTE_PGM_RSRC2:TGID_Z_EN: 1
; COMPUTE_PGM_RSRC2:TIDIG_COMP_CNT: 0
	.section	.text._ZL35rocblas_iamax_iamin_kernel_part1_64ILi1024E26rocblas_fetch_amax_amin_64IdE22rocblas_reduce_amin_64PKPKd24rocblas_index_64_value_tIdEEvlT2_lllPT3_,"axG",@progbits,_ZL35rocblas_iamax_iamin_kernel_part1_64ILi1024E26rocblas_fetch_amax_amin_64IdE22rocblas_reduce_amin_64PKPKd24rocblas_index_64_value_tIdEEvlT2_lllPT3_,comdat
	.globl	_ZL35rocblas_iamax_iamin_kernel_part1_64ILi1024E26rocblas_fetch_amax_amin_64IdE22rocblas_reduce_amin_64PKPKd24rocblas_index_64_value_tIdEEvlT2_lllPT3_ ; -- Begin function _ZL35rocblas_iamax_iamin_kernel_part1_64ILi1024E26rocblas_fetch_amax_amin_64IdE22rocblas_reduce_amin_64PKPKd24rocblas_index_64_value_tIdEEvlT2_lllPT3_
	.p2align	8
	.type	_ZL35rocblas_iamax_iamin_kernel_part1_64ILi1024E26rocblas_fetch_amax_amin_64IdE22rocblas_reduce_amin_64PKPKd24rocblas_index_64_value_tIdEEvlT2_lllPT3_,@function
_ZL35rocblas_iamax_iamin_kernel_part1_64ILi1024E26rocblas_fetch_amax_amin_64IdE22rocblas_reduce_amin_64PKPKd24rocblas_index_64_value_tIdEEvlT2_lllPT3_: ; @_ZL35rocblas_iamax_iamin_kernel_part1_64ILi1024E26rocblas_fetch_amax_amin_64IdE22rocblas_reduce_amin_64PKPKd24rocblas_index_64_value_tIdEEvlT2_lllPT3_
; %bb.0:
	s_load_b256 s[8:15], s[0:1], 0x0
	s_bfe_u32 s2, ttmp6, 0x40014
	s_lshr_b32 s3, ttmp7, 16
	s_add_co_i32 s2, s2, 1
	s_bfe_u32 s5, ttmp6, 0x4000c
	s_mul_i32 s2, s3, s2
	s_bfe_u32 s4, ttmp6, 0x40008
	s_add_co_i32 s5, s5, 1
	s_add_co_i32 s4, s4, s2
	s_and_b32 s2, ttmp6, 15
	s_mul_i32 s5, ttmp9, s5
	s_getreg_b32 s6, hwreg(HW_REG_IB_STS2, 6, 4)
	s_add_co_i32 s2, s2, s5
	s_cmp_eq_u32 s6, 0
	s_cselect_b32 s16, ttmp9, s2
	s_cselect_b32 s6, s3, s4
	s_wait_kmcnt 0x0
	v_cmp_lt_i64_e64 s7, s[8:9], 1
	s_and_b32 vcc_lo, exec_lo, s7
	s_mov_b32 s7, 0
	s_cbranch_vccnz .LBB17_53
; %bb.1:
	v_dual_mov_b32 v2, 0 :: v_dual_bitop2_b32 v3, 31, v0 bitop3:0x40
	v_lshl_or_b32 v18, s16, 10, v0
	v_mbcnt_lo_u32_b32 v6, -1, 0
	s_load_b64 s[4:5], s[10:11], s6 offset:0x0 scale_offset
	s_delay_alu instid0(VALU_DEP_3)
	v_dual_mov_b32 v19, v2 :: v_dual_lshlrev_b32 v1, 4, v3
	s_wait_xcnt 0x0
	s_load_b32 s10, s[0:1], 0x30
	v_cmp_gt_u32_e32 vcc_lo, 24, v6
	s_lshl_b64 s[12:13], s[12:13], 3
	v_mul_u64_e32 v[4:5], s[14:15], v[18:19]
	v_lshl_or_b32 v24, v6, 2, 64
	s_mov_b32 s11, s7
	v_cndmask_b32_e64 v7, 0, 8, vcc_lo
	v_cmp_gt_u32_e32 vcc_lo, 28, v6
	v_cmp_gt_u32_e64 s2, 32, v0
	v_cmp_eq_u32_e64 s3, 0, v3
                                        ; implicit-def: $vgpr12_vgpr13
	s_delay_alu instid0(VALU_DEP_4) | instskip(SKIP_2) | instid1(VALU_DEP_2)
	v_add_lshl_u32 v25, v7, v6, 2
	v_cndmask_b32_e64 v8, 0, 4, vcc_lo
	v_cmp_gt_u32_e32 vcc_lo, 30, v6
	v_add_lshl_u32 v26, v8, v6, 2
	v_cndmask_b32_e64 v9, 0, 2, vcc_lo
	v_cmp_ne_u32_e32 vcc_lo, 31, v6
	s_wait_kmcnt 0x0
	s_add_nc_u64 s[4:5], s[4:5], s[12:13]
	s_lshl_b32 s10, s10, 10
	v_add_lshl_u32 v27, v9, v6, 2
	v_add_co_ci_u32_e64 v10, null, 0, v6, vcc_lo
	v_lshrrev_b32_e32 v7, 1, v0
	v_cmp_ne_u32_e32 vcc_lo, 0, v0
	s_mul_u64 s[12:13], s[14:15], s[10:11]
	s_delay_alu instid0(VALU_DEP_3)
	v_lshlrev_b32_e32 v28, 2, v10
	s_lshl_b64 s[12:13], s[12:13], 3
	v_and_b32_e32 v29, 0x1f0, v7
	v_mov_b64_e32 v[6:7], 0
	s_mov_b64 s[14:15], 0
	s_xor_b32 s17, vcc_lo, -1
	v_lshl_add_u64 v[20:21], v[4:5], 3, s[4:5]
	s_branch .LBB17_4
.LBB17_2:                               ;   in Loop: Header=BB17_4 Depth=1
	s_or_b32 exec_lo, exec_lo, s4
	s_delay_alu instid0(VALU_DEP_2) | instskip(NEXT) | instid1(VALU_DEP_2)
	v_mov_b64_e32 v[6:7], v[10:11]
	v_mov_b64_e32 v[8:9], v[4:5]
.LBB17_3:                               ;   in Loop: Header=BB17_4 Depth=1
	s_or_b32 exec_lo, exec_lo, s5
	s_add_nc_u64 s[14:15], s[14:15], s[10:11]
	v_add_nc_u64_e32 v[20:21], s[12:13], v[20:21]
	v_cmp_ge_i64_e64 s4, s[14:15], s[8:9]
	s_and_b32 vcc_lo, exec_lo, s4
	s_cbranch_vccnz .LBB17_54
.LBB17_4:                               ; =>This Inner Loop Header: Depth=1
	v_add_nc_u64_e32 v[4:5], s[14:15], v[18:19]
	v_mov_b64_e32 v[14:15], 0
	s_mov_b32 s4, exec_lo
	s_delay_alu instid0(VALU_DEP_2)
	v_cmpx_gt_i64_e64 s[8:9], v[4:5]
	s_cbranch_execz .LBB17_6
; %bb.5:                                ;   in Loop: Header=BB17_4 Depth=1
	flat_load_b64 v[12:13], v[20:21]
	v_add_nc_u64_e32 v[14:15], 1, v[4:5]
	s_wait_loadcnt_dscnt 0x0
	v_cmp_gt_f64_e32 vcc_lo, 0, v[12:13]
	v_xor_b32_e32 v3, 0x80000000, v13
	s_delay_alu instid0(VALU_DEP_1)
	v_cndmask_b32_e32 v13, v13, v3, vcc_lo
.LBB17_6:                               ;   in Loop: Header=BB17_4 Depth=1
	s_or_b32 exec_lo, exec_lo, s4
	s_and_saveexec_b32 s4, s2
; %bb.7:                                ;   in Loop: Header=BB17_4 Depth=1
	v_dual_mov_b32 v3, v2 :: v_dual_mov_b32 v4, v2
	v_mov_b32_e32 v5, v2
	ds_store_b128 v1, v[2:5]
; %bb.8:                                ;   in Loop: Header=BB17_4 Depth=1
	s_or_b32 exec_lo, exec_lo, s4
	ds_bpermute_b32 v4, v24, v14
	ds_bpermute_b32 v5, v24, v15
	;; [unrolled: 1-line block ×4, first 2 shown]
	v_mov_b64_e32 v[16:17], v[12:13]
	s_mov_b32 s5, exec_lo
	s_wait_dscnt 0x0
	s_barrier_signal -1
	s_barrier_wait -1
	v_cmpx_ne_u64_e32 0, v[4:5]
	s_cbranch_execz .LBB17_12
; %bb.9:                                ;   in Loop: Header=BB17_4 Depth=1
	v_cmp_ngt_f64_e32 vcc_lo, v[12:13], v[10:11]
	v_cmp_ne_u64_e64 s4, 0, v[14:15]
	v_mov_b64_e32 v[16:17], v[10:11]
	s_and_b32 s18, s4, vcc_lo
	s_delay_alu instid0(SALU_CYCLE_1)
	s_and_saveexec_b32 s4, s18
	s_cbranch_execz .LBB17_11
; %bb.10:                               ;   in Loop: Header=BB17_4 Depth=1
	v_min_i64 v[4:5], v[4:5], v[14:15]
	v_cmp_eq_f64_e32 vcc_lo, v[12:13], v[10:11]
	v_mov_b64_e32 v[16:17], v[12:13]
	v_dual_mov_b32 v10, v12 :: v_dual_mov_b32 v11, v13
	s_delay_alu instid0(VALU_DEP_4)
	v_dual_cndmask_b32 v4, v14, v4 :: v_dual_cndmask_b32 v5, v15, v5
.LBB17_11:                              ;   in Loop: Header=BB17_4 Depth=1
	s_or_b32 exec_lo, exec_lo, s4
	s_delay_alu instid0(VALU_DEP_1) | instskip(NEXT) | instid1(VALU_DEP_3)
	v_mov_b64_e32 v[14:15], v[4:5]
	v_dual_mov_b32 v13, v11 :: v_dual_mov_b32 v12, v10
.LBB17_12:                              ;   in Loop: Header=BB17_4 Depth=1
	s_or_b32 exec_lo, exec_lo, s5
	ds_bpermute_b32 v4, v25, v14
	ds_bpermute_b32 v5, v25, v15
	;; [unrolled: 1-line block ×4, first 2 shown]
	s_mov_b32 s5, exec_lo
	s_wait_dscnt 0x2
	v_cmpx_ne_u64_e32 0, v[4:5]
	s_cbranch_execz .LBB17_16
; %bb.13:                               ;   in Loop: Header=BB17_4 Depth=1
	s_wait_dscnt 0x0
	v_cmp_ngt_f64_e32 vcc_lo, v[16:17], v[10:11]
	v_cmp_ne_u64_e64 s4, 0, v[14:15]
	v_mov_b64_e32 v[22:23], v[10:11]
	s_and_b32 s18, s4, vcc_lo
	s_delay_alu instid0(SALU_CYCLE_1)
	s_and_saveexec_b32 s4, s18
	s_cbranch_execz .LBB17_15
; %bb.14:                               ;   in Loop: Header=BB17_4 Depth=1
	v_min_i64 v[4:5], v[4:5], v[14:15]
	v_cmp_eq_f64_e32 vcc_lo, v[16:17], v[10:11]
	v_mov_b64_e32 v[22:23], v[16:17]
	v_dual_mov_b32 v10, v12 :: v_dual_mov_b32 v11, v13
	s_delay_alu instid0(VALU_DEP_4)
	v_dual_cndmask_b32 v4, v14, v4 :: v_dual_cndmask_b32 v5, v15, v5
.LBB17_15:                              ;   in Loop: Header=BB17_4 Depth=1
	s_or_b32 exec_lo, exec_lo, s4
	s_delay_alu instid0(VALU_DEP_1) | instskip(NEXT) | instid1(VALU_DEP_2)
	v_mov_b64_e32 v[14:15], v[4:5]
	v_mov_b64_e32 v[16:17], v[22:23]
	v_dual_mov_b32 v13, v11 :: v_dual_mov_b32 v12, v10
.LBB17_16:                              ;   in Loop: Header=BB17_4 Depth=1
	s_or_b32 exec_lo, exec_lo, s5
	ds_bpermute_b32 v4, v26, v14
	ds_bpermute_b32 v5, v26, v15
	s_wait_dscnt 0x3
	ds_bpermute_b32 v10, v26, v12
	s_wait_dscnt 0x3
	ds_bpermute_b32 v11, v26, v13
	s_mov_b32 s5, exec_lo
	s_wait_dscnt 0x2
	v_cmpx_ne_u64_e32 0, v[4:5]
	s_cbranch_execz .LBB17_20
; %bb.17:                               ;   in Loop: Header=BB17_4 Depth=1
	s_wait_dscnt 0x0
	v_cmp_ngt_f64_e32 vcc_lo, v[16:17], v[10:11]
	v_cmp_ne_u64_e64 s4, 0, v[14:15]
	v_mov_b64_e32 v[22:23], v[10:11]
	s_and_b32 s18, s4, vcc_lo
	s_delay_alu instid0(SALU_CYCLE_1)
	s_and_saveexec_b32 s4, s18
	s_cbranch_execz .LBB17_19
; %bb.18:                               ;   in Loop: Header=BB17_4 Depth=1
	v_min_i64 v[4:5], v[4:5], v[14:15]
	v_cmp_eq_f64_e32 vcc_lo, v[16:17], v[10:11]
	v_mov_b64_e32 v[22:23], v[16:17]
	v_dual_mov_b32 v10, v12 :: v_dual_mov_b32 v11, v13
	s_delay_alu instid0(VALU_DEP_4)
	v_dual_cndmask_b32 v4, v14, v4 :: v_dual_cndmask_b32 v5, v15, v5
.LBB17_19:                              ;   in Loop: Header=BB17_4 Depth=1
	s_or_b32 exec_lo, exec_lo, s4
	s_delay_alu instid0(VALU_DEP_1) | instskip(NEXT) | instid1(VALU_DEP_2)
	v_mov_b64_e32 v[14:15], v[4:5]
	v_mov_b64_e32 v[16:17], v[22:23]
	v_dual_mov_b32 v13, v11 :: v_dual_mov_b32 v12, v10
.LBB17_20:                              ;   in Loop: Header=BB17_4 Depth=1
	s_or_b32 exec_lo, exec_lo, s5
	ds_bpermute_b32 v4, v27, v14
	ds_bpermute_b32 v5, v27, v15
	s_wait_dscnt 0x3
	ds_bpermute_b32 v10, v27, v12
	s_wait_dscnt 0x3
	ds_bpermute_b32 v11, v27, v13
	s_mov_b32 s5, exec_lo
	s_wait_dscnt 0x2
	v_cmpx_ne_u64_e32 0, v[4:5]
	s_cbranch_execz .LBB17_24
; %bb.21:                               ;   in Loop: Header=BB17_4 Depth=1
	s_wait_dscnt 0x0
	v_cmp_ngt_f64_e32 vcc_lo, v[16:17], v[10:11]
	v_cmp_ne_u64_e64 s4, 0, v[14:15]
	v_mov_b64_e32 v[22:23], v[10:11]
	s_and_b32 s18, s4, vcc_lo
	s_delay_alu instid0(SALU_CYCLE_1)
	s_and_saveexec_b32 s4, s18
	s_cbranch_execz .LBB17_23
; %bb.22:                               ;   in Loop: Header=BB17_4 Depth=1
	v_min_i64 v[4:5], v[4:5], v[14:15]
	v_cmp_eq_f64_e32 vcc_lo, v[16:17], v[10:11]
	v_mov_b64_e32 v[22:23], v[16:17]
	v_dual_mov_b32 v10, v12 :: v_dual_mov_b32 v11, v13
	s_delay_alu instid0(VALU_DEP_4)
	v_dual_cndmask_b32 v4, v14, v4 :: v_dual_cndmask_b32 v5, v15, v5
.LBB17_23:                              ;   in Loop: Header=BB17_4 Depth=1
	s_or_b32 exec_lo, exec_lo, s4
	s_delay_alu instid0(VALU_DEP_1) | instskip(NEXT) | instid1(VALU_DEP_2)
	v_mov_b64_e32 v[14:15], v[4:5]
	v_mov_b64_e32 v[16:17], v[22:23]
	v_dual_mov_b32 v13, v11 :: v_dual_mov_b32 v12, v10
.LBB17_24:                              ;   in Loop: Header=BB17_4 Depth=1
	s_or_b32 exec_lo, exec_lo, s5
	s_wait_dscnt 0x1
	ds_bpermute_b32 v10, v28, v14
	s_wait_dscnt 0x1
	ds_bpermute_b32 v11, v28, v15
	ds_bpermute_b32 v4, v28, v12
	;; [unrolled: 1-line block ×3, first 2 shown]
	s_mov_b32 s18, exec_lo
	s_wait_dscnt 0x2
	v_cmpx_ne_u64_e32 0, v[10:11]
	s_cbranch_execz .LBB17_26
; %bb.25:                               ;   in Loop: Header=BB17_4 Depth=1
	v_min_i64 v[22:23], v[10:11], v[14:15]
	s_wait_dscnt 0x0
	v_mov_b32_e32 v5, v12
	v_cmp_eq_u64_e64 s5, 0, v[14:15]
	s_delay_alu instid0(VALU_DEP_2) | instskip(NEXT) | instid1(VALU_DEP_4)
	v_cmp_eq_f64_e32 vcc_lo, v[16:17], v[4:5]
	v_cndmask_b32_e32 v3, v14, v22, vcc_lo
	v_cmp_gt_f64_e64 s4, v[16:17], v[4:5]
	v_cndmask_b32_e32 v5, v15, v23, vcc_lo
	s_or_b32 vcc_lo, s5, s4
	v_dual_cndmask_b32 v14, v3, v10 :: v_dual_cndmask_b32 v17, v17, v12
	s_delay_alu instid0(VALU_DEP_2)
	v_dual_cndmask_b32 v15, v5, v11 :: v_dual_cndmask_b32 v16, v16, v4
.LBB17_26:                              ;   in Loop: Header=BB17_4 Depth=1
	s_or_b32 exec_lo, exec_lo, s18
	s_and_saveexec_b32 s4, s3
; %bb.27:                               ;   in Loop: Header=BB17_4 Depth=1
	ds_store_b128 v29, v[14:17]
; %bb.28:                               ;   in Loop: Header=BB17_4 Depth=1
	s_or_b32 exec_lo, exec_lo, s4
	s_wait_dscnt 0x0
	v_mov_b64_e32 v[12:13], 0
	v_mov_b64_e32 v[10:11], 0
	s_barrier_signal -1
	s_barrier_wait -1
	s_and_saveexec_b32 s4, s2
; %bb.29:                               ;   in Loop: Header=BB17_4 Depth=1
	ds_load_b128 v[10:13], v1
; %bb.30:                               ;   in Loop: Header=BB17_4 Depth=1
	s_or_b32 exec_lo, exec_lo, s4
	s_and_saveexec_b32 s18, s2
	s_cbranch_execz .LBB17_50
; %bb.31:                               ;   in Loop: Header=BB17_4 Depth=1
	s_wait_dscnt 0x0
	ds_bpermute_b32 v14, v24, v10
	ds_bpermute_b32 v15, v24, v11
	;; [unrolled: 1-line block ×4, first 2 shown]
	v_mov_b64_e32 v[4:5], v[12:13]
	s_mov_b32 s5, exec_lo
	s_wait_dscnt 0x2
	v_cmpx_ne_u64_e32 0, v[14:15]
	s_cbranch_execz .LBB17_35
; %bb.32:                               ;   in Loop: Header=BB17_4 Depth=1
	s_wait_dscnt 0x0
	v_cmp_ngt_f64_e32 vcc_lo, v[12:13], v[16:17]
	v_cmp_ne_u64_e64 s4, 0, v[10:11]
	v_mov_b64_e32 v[4:5], v[16:17]
	s_and_b32 s19, s4, vcc_lo
	s_delay_alu instid0(SALU_CYCLE_1)
	s_and_saveexec_b32 s4, s19
	s_cbranch_execz .LBB17_34
; %bb.33:                               ;   in Loop: Header=BB17_4 Depth=1
	v_min_i64 v[14:15], v[14:15], v[10:11]
	v_cmp_eq_f64_e32 vcc_lo, v[12:13], v[16:17]
	v_mov_b64_e32 v[4:5], v[12:13]
	v_dual_mov_b32 v16, v12 :: v_dual_mov_b32 v17, v13
	s_delay_alu instid0(VALU_DEP_4)
	v_dual_cndmask_b32 v14, v10, v14 :: v_dual_cndmask_b32 v15, v11, v15
.LBB17_34:                              ;   in Loop: Header=BB17_4 Depth=1
	s_or_b32 exec_lo, exec_lo, s4
	s_delay_alu instid0(VALU_DEP_1) | instskip(NEXT) | instid1(VALU_DEP_3)
	v_mov_b64_e32 v[10:11], v[14:15]
	v_dual_mov_b32 v13, v17 :: v_dual_mov_b32 v12, v16
.LBB17_35:                              ;   in Loop: Header=BB17_4 Depth=1
	s_or_b32 exec_lo, exec_lo, s5
	ds_bpermute_b32 v14, v25, v10
	ds_bpermute_b32 v15, v25, v11
	s_wait_dscnt 0x3
	ds_bpermute_b32 v16, v25, v12
	s_wait_dscnt 0x3
	ds_bpermute_b32 v17, v25, v13
	s_mov_b32 s5, exec_lo
	s_wait_dscnt 0x2
	v_cmpx_ne_u64_e32 0, v[14:15]
	s_cbranch_execz .LBB17_39
; %bb.36:                               ;   in Loop: Header=BB17_4 Depth=1
	s_wait_dscnt 0x0
	v_cmp_ngt_f64_e32 vcc_lo, v[4:5], v[16:17]
	v_cmp_ne_u64_e64 s4, 0, v[10:11]
	v_mov_b64_e32 v[22:23], v[16:17]
	s_and_b32 s19, s4, vcc_lo
	s_delay_alu instid0(SALU_CYCLE_1)
	s_and_saveexec_b32 s4, s19
	s_cbranch_execz .LBB17_38
; %bb.37:                               ;   in Loop: Header=BB17_4 Depth=1
	v_min_i64 v[14:15], v[14:15], v[10:11]
	v_cmp_eq_f64_e32 vcc_lo, v[4:5], v[16:17]
	v_mov_b64_e32 v[22:23], v[4:5]
	v_dual_mov_b32 v16, v12 :: v_dual_mov_b32 v17, v13
	s_delay_alu instid0(VALU_DEP_4)
	v_dual_cndmask_b32 v14, v10, v14 :: v_dual_cndmask_b32 v15, v11, v15
.LBB17_38:                              ;   in Loop: Header=BB17_4 Depth=1
	s_or_b32 exec_lo, exec_lo, s4
	s_delay_alu instid0(VALU_DEP_1) | instskip(NEXT) | instid1(VALU_DEP_2)
	v_mov_b64_e32 v[10:11], v[14:15]
	v_mov_b64_e32 v[4:5], v[22:23]
	v_dual_mov_b32 v13, v17 :: v_dual_mov_b32 v12, v16
.LBB17_39:                              ;   in Loop: Header=BB17_4 Depth=1
	s_or_b32 exec_lo, exec_lo, s5
	ds_bpermute_b32 v14, v26, v10
	ds_bpermute_b32 v15, v26, v11
	s_wait_dscnt 0x3
	ds_bpermute_b32 v16, v26, v12
	s_wait_dscnt 0x3
	ds_bpermute_b32 v17, v26, v13
	s_mov_b32 s5, exec_lo
	s_wait_dscnt 0x2
	v_cmpx_ne_u64_e32 0, v[14:15]
	s_cbranch_execz .LBB17_43
; %bb.40:                               ;   in Loop: Header=BB17_4 Depth=1
	s_wait_dscnt 0x0
	v_cmp_ngt_f64_e32 vcc_lo, v[4:5], v[16:17]
	v_cmp_ne_u64_e64 s4, 0, v[10:11]
	v_mov_b64_e32 v[22:23], v[16:17]
	s_and_b32 s19, s4, vcc_lo
	s_delay_alu instid0(SALU_CYCLE_1)
	s_and_saveexec_b32 s4, s19
	s_cbranch_execz .LBB17_42
; %bb.41:                               ;   in Loop: Header=BB17_4 Depth=1
	v_min_i64 v[14:15], v[14:15], v[10:11]
	v_cmp_eq_f64_e32 vcc_lo, v[4:5], v[16:17]
	v_mov_b64_e32 v[22:23], v[4:5]
	v_dual_mov_b32 v16, v12 :: v_dual_mov_b32 v17, v13
	s_delay_alu instid0(VALU_DEP_4)
	v_dual_cndmask_b32 v14, v10, v14 :: v_dual_cndmask_b32 v15, v11, v15
.LBB17_42:                              ;   in Loop: Header=BB17_4 Depth=1
	s_or_b32 exec_lo, exec_lo, s4
	s_delay_alu instid0(VALU_DEP_1) | instskip(NEXT) | instid1(VALU_DEP_2)
	v_mov_b64_e32 v[10:11], v[14:15]
	v_mov_b64_e32 v[4:5], v[22:23]
	v_dual_mov_b32 v13, v17 :: v_dual_mov_b32 v12, v16
.LBB17_43:                              ;   in Loop: Header=BB17_4 Depth=1
	;; [unrolled: 34-line block ×3, first 2 shown]
	s_or_b32 exec_lo, exec_lo, s5
	ds_bpermute_b32 v14, v28, v10
	ds_bpermute_b32 v15, v28, v11
	;; [unrolled: 1-line block ×3, first 2 shown]
	s_wait_dscnt 0x4
	ds_bpermute_b32 v16, v28, v13
	s_mov_b32 s19, exec_lo
	s_wait_dscnt 0x2
	v_cmpx_ne_u64_e32 0, v[14:15]
	s_cbranch_execz .LBB17_49
; %bb.48:                               ;   in Loop: Header=BB17_4 Depth=1
	v_min_i64 v[22:23], v[14:15], v[10:11]
	s_wait_dscnt 0x0
	v_mov_b32_e32 v13, v16
	v_cmp_eq_u64_e64 s5, 0, v[10:11]
	s_delay_alu instid0(VALU_DEP_2) | instskip(NEXT) | instid1(VALU_DEP_4)
	v_cmp_eq_f64_e32 vcc_lo, v[4:5], v[12:13]
	v_cndmask_b32_e32 v3, v10, v22, vcc_lo
	v_cmp_gt_f64_e64 s4, v[4:5], v[12:13]
	v_cndmask_b32_e32 v10, v11, v23, vcc_lo
	s_or_b32 vcc_lo, s5, s4
	s_delay_alu instid0(VALU_DEP_1) | instid1(SALU_CYCLE_1)
	v_dual_cndmask_b32 v5, v5, v16, vcc_lo :: v_dual_cndmask_b32 v11, v10, v15, vcc_lo
	v_dual_cndmask_b32 v10, v3, v14, vcc_lo :: v_dual_cndmask_b32 v4, v4, v12, vcc_lo
.LBB17_49:                              ;   in Loop: Header=BB17_4 Depth=1
	s_or_b32 exec_lo, exec_lo, s19
	s_wait_dscnt 0x1
	s_delay_alu instid0(VALU_DEP_1)
	v_mov_b64_e32 v[12:13], v[4:5]
.LBB17_50:                              ;   in Loop: Header=BB17_4 Depth=1
	s_or_b32 exec_lo, exec_lo, s18
	s_wait_dscnt 0x0
	v_cmp_ne_u64_e32 vcc_lo, 0, v[10:11]
	s_and_b32 s4, s17, vcc_lo
	s_delay_alu instid0(SALU_CYCLE_1)
	s_and_saveexec_b32 s5, s4
	s_cbranch_execz .LBB17_3
; %bb.51:                               ;   in Loop: Header=BB17_4 Depth=1
	v_cmp_nlt_f64_e32 vcc_lo, v[12:13], v[8:9]
	v_cmp_ne_u64_e64 s4, 0, v[6:7]
	v_mov_b64_e32 v[4:5], v[12:13]
	s_and_b32 s18, s4, vcc_lo
	s_delay_alu instid0(SALU_CYCLE_1)
	s_and_saveexec_b32 s4, s18
	s_cbranch_execz .LBB17_2
; %bb.52:                               ;   in Loop: Header=BB17_4 Depth=1
	v_min_i64 v[4:5], v[10:11], v[6:7]
	v_cmp_eq_f64_e32 vcc_lo, v[8:9], v[12:13]
	s_delay_alu instid0(VALU_DEP_2)
	v_dual_cndmask_b32 v11, v7, v5 :: v_dual_cndmask_b32 v10, v6, v4
	v_mov_b64_e32 v[4:5], v[8:9]
	s_branch .LBB17_2
.LBB17_53:
	v_mov_b64_e32 v[6:7], 0
.LBB17_54:
	s_mov_b32 s3, 0
	s_mov_b32 s2, exec_lo
	v_cmpx_eq_u32_e32 0, v0
	s_cbranch_execz .LBB17_56
; %bb.55:
	s_load_b96 s[8:10], s[0:1], 0x28
	v_mov_b32_e32 v0, s16
	s_wait_kmcnt 0x0
	s_mov_b32 s2, s10
	s_delay_alu instid0(SALU_CYCLE_1) | instskip(NEXT) | instid1(SALU_CYCLE_1)
	s_mul_u64 s[0:1], s[2:3], s[6:7]
	s_lshl_b64 s[0:1], s[0:1], 4
	s_delay_alu instid0(SALU_CYCLE_1)
	s_add_nc_u64 s[0:1], s[8:9], s[0:1]
	global_store_b128 v0, v[6:9], s[0:1] scale_offset
.LBB17_56:
	s_endpgm
	.section	.rodata,"a",@progbits
	.p2align	6, 0x0
	.amdhsa_kernel _ZL35rocblas_iamax_iamin_kernel_part1_64ILi1024E26rocblas_fetch_amax_amin_64IdE22rocblas_reduce_amin_64PKPKd24rocblas_index_64_value_tIdEEvlT2_lllPT3_
		.amdhsa_group_segment_fixed_size 512
		.amdhsa_private_segment_fixed_size 0
		.amdhsa_kernarg_size 304
		.amdhsa_user_sgpr_count 2
		.amdhsa_user_sgpr_dispatch_ptr 0
		.amdhsa_user_sgpr_queue_ptr 0
		.amdhsa_user_sgpr_kernarg_segment_ptr 1
		.amdhsa_user_sgpr_dispatch_id 0
		.amdhsa_user_sgpr_kernarg_preload_length 0
		.amdhsa_user_sgpr_kernarg_preload_offset 0
		.amdhsa_user_sgpr_private_segment_size 0
		.amdhsa_wavefront_size32 1
		.amdhsa_uses_dynamic_stack 0
		.amdhsa_enable_private_segment 0
		.amdhsa_system_sgpr_workgroup_id_x 1
		.amdhsa_system_sgpr_workgroup_id_y 0
		.amdhsa_system_sgpr_workgroup_id_z 1
		.amdhsa_system_sgpr_workgroup_info 0
		.amdhsa_system_vgpr_workitem_id 0
		.amdhsa_next_free_vgpr 30
		.amdhsa_next_free_sgpr 20
		.amdhsa_named_barrier_count 0
		.amdhsa_reserve_vcc 1
		.amdhsa_float_round_mode_32 0
		.amdhsa_float_round_mode_16_64 0
		.amdhsa_float_denorm_mode_32 3
		.amdhsa_float_denorm_mode_16_64 3
		.amdhsa_fp16_overflow 0
		.amdhsa_memory_ordered 1
		.amdhsa_forward_progress 1
		.amdhsa_inst_pref_size 18
		.amdhsa_round_robin_scheduling 0
		.amdhsa_exception_fp_ieee_invalid_op 0
		.amdhsa_exception_fp_denorm_src 0
		.amdhsa_exception_fp_ieee_div_zero 0
		.amdhsa_exception_fp_ieee_overflow 0
		.amdhsa_exception_fp_ieee_underflow 0
		.amdhsa_exception_fp_ieee_inexact 0
		.amdhsa_exception_int_div_zero 0
	.end_amdhsa_kernel
	.section	.text._ZL35rocblas_iamax_iamin_kernel_part1_64ILi1024E26rocblas_fetch_amax_amin_64IdE22rocblas_reduce_amin_64PKPKd24rocblas_index_64_value_tIdEEvlT2_lllPT3_,"axG",@progbits,_ZL35rocblas_iamax_iamin_kernel_part1_64ILi1024E26rocblas_fetch_amax_amin_64IdE22rocblas_reduce_amin_64PKPKd24rocblas_index_64_value_tIdEEvlT2_lllPT3_,comdat
.Lfunc_end17:
	.size	_ZL35rocblas_iamax_iamin_kernel_part1_64ILi1024E26rocblas_fetch_amax_amin_64IdE22rocblas_reduce_amin_64PKPKd24rocblas_index_64_value_tIdEEvlT2_lllPT3_, .Lfunc_end17-_ZL35rocblas_iamax_iamin_kernel_part1_64ILi1024E26rocblas_fetch_amax_amin_64IdE22rocblas_reduce_amin_64PKPKd24rocblas_index_64_value_tIdEEvlT2_lllPT3_
                                        ; -- End function
	.set _ZL35rocblas_iamax_iamin_kernel_part1_64ILi1024E26rocblas_fetch_amax_amin_64IdE22rocblas_reduce_amin_64PKPKd24rocblas_index_64_value_tIdEEvlT2_lllPT3_.num_vgpr, 30
	.set _ZL35rocblas_iamax_iamin_kernel_part1_64ILi1024E26rocblas_fetch_amax_amin_64IdE22rocblas_reduce_amin_64PKPKd24rocblas_index_64_value_tIdEEvlT2_lllPT3_.num_agpr, 0
	.set _ZL35rocblas_iamax_iamin_kernel_part1_64ILi1024E26rocblas_fetch_amax_amin_64IdE22rocblas_reduce_amin_64PKPKd24rocblas_index_64_value_tIdEEvlT2_lllPT3_.numbered_sgpr, 20
	.set _ZL35rocblas_iamax_iamin_kernel_part1_64ILi1024E26rocblas_fetch_amax_amin_64IdE22rocblas_reduce_amin_64PKPKd24rocblas_index_64_value_tIdEEvlT2_lllPT3_.num_named_barrier, 0
	.set _ZL35rocblas_iamax_iamin_kernel_part1_64ILi1024E26rocblas_fetch_amax_amin_64IdE22rocblas_reduce_amin_64PKPKd24rocblas_index_64_value_tIdEEvlT2_lllPT3_.private_seg_size, 0
	.set _ZL35rocblas_iamax_iamin_kernel_part1_64ILi1024E26rocblas_fetch_amax_amin_64IdE22rocblas_reduce_amin_64PKPKd24rocblas_index_64_value_tIdEEvlT2_lllPT3_.uses_vcc, 1
	.set _ZL35rocblas_iamax_iamin_kernel_part1_64ILi1024E26rocblas_fetch_amax_amin_64IdE22rocblas_reduce_amin_64PKPKd24rocblas_index_64_value_tIdEEvlT2_lllPT3_.uses_flat_scratch, 0
	.set _ZL35rocblas_iamax_iamin_kernel_part1_64ILi1024E26rocblas_fetch_amax_amin_64IdE22rocblas_reduce_amin_64PKPKd24rocblas_index_64_value_tIdEEvlT2_lllPT3_.has_dyn_sized_stack, 0
	.set _ZL35rocblas_iamax_iamin_kernel_part1_64ILi1024E26rocblas_fetch_amax_amin_64IdE22rocblas_reduce_amin_64PKPKd24rocblas_index_64_value_tIdEEvlT2_lllPT3_.has_recursion, 0
	.set _ZL35rocblas_iamax_iamin_kernel_part1_64ILi1024E26rocblas_fetch_amax_amin_64IdE22rocblas_reduce_amin_64PKPKd24rocblas_index_64_value_tIdEEvlT2_lllPT3_.has_indirect_call, 0
	.section	.AMDGPU.csdata,"",@progbits
; Kernel info:
; codeLenInByte = 2232
; TotalNumSgprs: 22
; NumVgprs: 30
; ScratchSize: 0
; MemoryBound: 0
; FloatMode: 240
; IeeeMode: 1
; LDSByteSize: 512 bytes/workgroup (compile time only)
; SGPRBlocks: 0
; VGPRBlocks: 1
; NumSGPRsForWavesPerEU: 22
; NumVGPRsForWavesPerEU: 30
; NamedBarCnt: 0
; Occupancy: 16
; WaveLimiterHint : 0
; COMPUTE_PGM_RSRC2:SCRATCH_EN: 0
; COMPUTE_PGM_RSRC2:USER_SGPR: 2
; COMPUTE_PGM_RSRC2:TRAP_HANDLER: 0
; COMPUTE_PGM_RSRC2:TGID_X_EN: 1
; COMPUTE_PGM_RSRC2:TGID_Y_EN: 0
; COMPUTE_PGM_RSRC2:TGID_Z_EN: 1
; COMPUTE_PGM_RSRC2:TIDIG_COMP_CNT: 0
	.section	.text._ZL35rocblas_iamax_iamin_kernel_part1_64ILi1024E26rocblas_fetch_amax_amin_64IfE22rocblas_reduce_amin_64PKPK19rocblas_complex_numIfE24rocblas_index_64_value_tIfEEvlT2_lllPT3_,"axG",@progbits,_ZL35rocblas_iamax_iamin_kernel_part1_64ILi1024E26rocblas_fetch_amax_amin_64IfE22rocblas_reduce_amin_64PKPK19rocblas_complex_numIfE24rocblas_index_64_value_tIfEEvlT2_lllPT3_,comdat
	.globl	_ZL35rocblas_iamax_iamin_kernel_part1_64ILi1024E26rocblas_fetch_amax_amin_64IfE22rocblas_reduce_amin_64PKPK19rocblas_complex_numIfE24rocblas_index_64_value_tIfEEvlT2_lllPT3_ ; -- Begin function _ZL35rocblas_iamax_iamin_kernel_part1_64ILi1024E26rocblas_fetch_amax_amin_64IfE22rocblas_reduce_amin_64PKPK19rocblas_complex_numIfE24rocblas_index_64_value_tIfEEvlT2_lllPT3_
	.p2align	8
	.type	_ZL35rocblas_iamax_iamin_kernel_part1_64ILi1024E26rocblas_fetch_amax_amin_64IfE22rocblas_reduce_amin_64PKPK19rocblas_complex_numIfE24rocblas_index_64_value_tIfEEvlT2_lllPT3_,@function
_ZL35rocblas_iamax_iamin_kernel_part1_64ILi1024E26rocblas_fetch_amax_amin_64IfE22rocblas_reduce_amin_64PKPK19rocblas_complex_numIfE24rocblas_index_64_value_tIfEEvlT2_lllPT3_: ; @_ZL35rocblas_iamax_iamin_kernel_part1_64ILi1024E26rocblas_fetch_amax_amin_64IfE22rocblas_reduce_amin_64PKPK19rocblas_complex_numIfE24rocblas_index_64_value_tIfEEvlT2_lllPT3_
; %bb.0:
	s_load_b256 s[8:15], s[0:1], 0x0
	s_bfe_u32 s2, ttmp6, 0x40014
	s_lshr_b32 s3, ttmp7, 16
	s_add_co_i32 s2, s2, 1
	s_bfe_u32 s5, ttmp6, 0x4000c
	s_mul_i32 s2, s3, s2
	s_bfe_u32 s4, ttmp6, 0x40008
	s_add_co_i32 s5, s5, 1
	s_add_co_i32 s4, s4, s2
	s_and_b32 s2, ttmp6, 15
	s_mul_i32 s5, ttmp9, s5
	s_getreg_b32 s6, hwreg(HW_REG_IB_STS2, 6, 4)
	s_add_co_i32 s2, s2, s5
	s_cmp_eq_u32 s6, 0
	s_mov_b32 s17, 0
	s_cselect_b32 s6, ttmp9, s2
	s_cselect_b32 s16, s3, s4
	s_wait_kmcnt 0x0
	v_cmp_lt_i64_e64 s7, s[8:9], 1
	s_and_b32 vcc_lo, exec_lo, s7
	s_cbranch_vccnz .LBB18_53
; %bb.1:
	v_lshl_or_b32 v6, s6, 10, v0
	v_dual_mov_b32 v7, 0 :: v_dual_bitop2_b32 v2, 31, v0 bitop3:0x40
	v_mbcnt_lo_u32_b32 v3, -1, 0
	s_load_b64 s[4:5], s[10:11], s16 offset:0x0 scale_offset
	s_load_b32 s7, s[0:1], 0x30
	s_delay_alu instid0(VALU_DEP_2)
	v_mul_u64_e32 v[10:11], s[14:15], v[6:7]
	v_lshlrev_b32_e32 v1, 4, v2
	v_cmp_gt_u32_e32 vcc_lo, 24, v3
	s_lshl_b64 s[12:13], s[12:13], 3
	v_lshl_or_b32 v5, v3, 2, 64
	v_cmp_eq_u32_e64 s3, 0, v2
	s_wait_xcnt 0x0
	s_mov_b32 s11, s17
	v_cndmask_b32_e64 v4, 0, 8, vcc_lo
	v_cmp_gt_u32_e32 vcc_lo, 28, v3
	v_cmp_gt_u32_e64 s2, 32, v0
                                        ; implicit-def: $vgpr21
	s_delay_alu instid0(VALU_DEP_3) | instskip(SKIP_3) | instid1(VALU_DEP_3)
	v_add_lshl_u32 v16, v4, v3, 2
	v_cndmask_b32_e64 v8, 0, 4, vcc_lo
	v_cmp_gt_u32_e32 vcc_lo, 30, v3
	v_lshrrev_b32_e32 v4, 1, v0
	v_add_lshl_u32 v17, v8, v3, 2
	v_cndmask_b32_e64 v9, 0, 2, vcc_lo
	v_cmp_ne_u32_e32 vcc_lo, 31, v3
	s_delay_alu instid0(VALU_DEP_4)
	v_and_b32_e32 v20, 0x1f0, v4
	s_wait_kmcnt 0x0
	s_add_nc_u64 s[4:5], s[4:5], s[12:13]
	s_lshl_b32 s10, s7, 10
	v_add_lshl_u32 v18, v9, v3, 2
	v_add_co_ci_u32_e64 v12, null, 0, v3, vcc_lo
	v_cmp_ne_u32_e32 vcc_lo, 0, v0
	v_mov_b64_e32 v[8:9], 0
	v_mov_b64_e32 v[2:3], 0
	s_delay_alu instid0(VALU_DEP_4)
	v_lshlrev_b32_e32 v19, 2, v12
	s_mul_u64 s[12:13], s[14:15], s[10:11]
	v_lshl_add_u64 v[10:11], v[10:11], 3, s[4:5]
	s_lshl_b64 s[12:13], s[12:13], 3
	s_mov_b64 s[14:15], 0
	s_xor_b32 s7, vcc_lo, -1
	s_branch .LBB18_4
.LBB18_2:                               ;   in Loop: Header=BB18_4 Depth=1
	s_or_b32 exec_lo, exec_lo, s4
	s_delay_alu instid0(VALU_DEP_1)
	v_mov_b64_e32 v[2:3], v[12:13]
	v_mov_b32_e32 v4, v14
.LBB18_3:                               ;   in Loop: Header=BB18_4 Depth=1
	s_or_b32 exec_lo, exec_lo, s5
	s_add_nc_u64 s[14:15], s[14:15], s[10:11]
	v_add_nc_u64_e32 v[10:11], s[12:13], v[10:11]
	v_cmp_ge_i64_e64 s4, s[14:15], s[8:9]
	s_and_b32 vcc_lo, exec_lo, s4
	s_cbranch_vccnz .LBB18_54
.LBB18_4:                               ; =>This Inner Loop Header: Depth=1
	v_add_nc_u64_e32 v[14:15], s[14:15], v[6:7]
	v_mov_b64_e32 v[12:13], 0
	s_mov_b32 s4, exec_lo
	s_delay_alu instid0(VALU_DEP_2)
	v_cmpx_gt_i64_e64 s[8:9], v[14:15]
	s_cbranch_execz .LBB18_6
; %bb.5:                                ;   in Loop: Header=BB18_4 Depth=1
	flat_load_b64 v[12:13], v[10:11]
	s_wait_loadcnt_dscnt 0x0
	v_cmp_gt_f32_e32 vcc_lo, 0, v13
	v_cndmask_b32_e64 v21, v13, -v13, vcc_lo
	v_cmp_gt_f32_e32 vcc_lo, 0, v12
	v_cndmask_b32_e64 v22, v12, -v12, vcc_lo
	v_add_nc_u64_e32 v[12:13], 1, v[14:15]
	s_delay_alu instid0(VALU_DEP_2)
	v_add_f32_e32 v21, v22, v21
.LBB18_6:                               ;   in Loop: Header=BB18_4 Depth=1
	s_wait_xcnt 0x0
	s_or_b32 exec_lo, exec_lo, s4
	s_and_saveexec_b32 s4, s2
	s_cbranch_execz .LBB18_8
; %bb.7:                                ;   in Loop: Header=BB18_4 Depth=1
	ds_store_b64 v1, v[8:9]
	ds_store_b32 v1, v7 offset:8
.LBB18_8:                               ;   in Loop: Header=BB18_4 Depth=1
	s_or_b32 exec_lo, exec_lo, s4
	ds_bpermute_b32 v14, v5, v12
	ds_bpermute_b32 v15, v5, v13
	s_wait_dscnt 0x2
	ds_bpermute_b32 v23, v5, v21
	v_mov_b32_e32 v22, v21
	s_mov_b32 s5, exec_lo
	s_wait_dscnt 0x0
	s_barrier_signal -1
	s_barrier_wait -1
	v_cmpx_ne_u64_e32 0, v[14:15]
	s_cbranch_execz .LBB18_12
; %bb.9:                                ;   in Loop: Header=BB18_4 Depth=1
	v_cmp_ne_u64_e32 vcc_lo, 0, v[12:13]
	v_cmp_ngt_f32_e64 s4, v21, v23
	s_and_b32 s18, vcc_lo, s4
	s_delay_alu instid0(SALU_CYCLE_1)
	s_and_saveexec_b32 s4, s18
	s_cbranch_execz .LBB18_11
; %bb.10:                               ;   in Loop: Header=BB18_4 Depth=1
	v_min_i64 v[14:15], v[14:15], v[12:13]
	v_cmp_eq_f32_e32 vcc_lo, v21, v23
	v_mov_b32_e32 v23, v21
	s_delay_alu instid0(VALU_DEP_3)
	v_dual_cndmask_b32 v15, v13, v15 :: v_dual_cndmask_b32 v14, v12, v14
.LBB18_11:                              ;   in Loop: Header=BB18_4 Depth=1
	s_or_b32 exec_lo, exec_lo, s4
	s_delay_alu instid0(VALU_DEP_1) | instskip(NEXT) | instid1(VALU_DEP_3)
	v_mov_b64_e32 v[12:13], v[14:15]
	v_dual_mov_b32 v21, v23 :: v_dual_mov_b32 v22, v23
.LBB18_12:                              ;   in Loop: Header=BB18_4 Depth=1
	s_or_b32 exec_lo, exec_lo, s5
	ds_bpermute_b32 v14, v16, v12
	ds_bpermute_b32 v15, v16, v13
	;; [unrolled: 1-line block ×3, first 2 shown]
	s_mov_b32 s5, exec_lo
	s_wait_dscnt 0x1
	v_cmpx_ne_u64_e32 0, v[14:15]
	s_cbranch_execz .LBB18_16
; %bb.13:                               ;   in Loop: Header=BB18_4 Depth=1
	v_cmp_ne_u64_e32 vcc_lo, 0, v[12:13]
	s_wait_dscnt 0x0
	v_cmp_ngt_f32_e64 s4, v22, v23
	v_mov_b32_e32 v24, v23
	s_and_b32 s18, vcc_lo, s4
	s_delay_alu instid0(SALU_CYCLE_1)
	s_and_saveexec_b32 s4, s18
	s_cbranch_execz .LBB18_15
; %bb.14:                               ;   in Loop: Header=BB18_4 Depth=1
	v_min_i64 v[14:15], v[14:15], v[12:13]
	v_cmp_eq_f32_e32 vcc_lo, v22, v23
	v_dual_mov_b32 v24, v22 :: v_dual_mov_b32 v23, v21
	s_delay_alu instid0(VALU_DEP_3)
	v_dual_cndmask_b32 v14, v12, v14 :: v_dual_cndmask_b32 v15, v13, v15
.LBB18_15:                              ;   in Loop: Header=BB18_4 Depth=1
	s_or_b32 exec_lo, exec_lo, s4
	s_delay_alu instid0(VALU_DEP_1) | instskip(NEXT) | instid1(VALU_DEP_2)
	v_mov_b64_e32 v[12:13], v[14:15]
	v_dual_mov_b32 v21, v23 :: v_dual_mov_b32 v22, v24
.LBB18_16:                              ;   in Loop: Header=BB18_4 Depth=1
	s_or_b32 exec_lo, exec_lo, s5
	ds_bpermute_b32 v14, v17, v12
	ds_bpermute_b32 v15, v17, v13
	s_wait_dscnt 0x2
	ds_bpermute_b32 v23, v17, v21
	s_mov_b32 s5, exec_lo
	s_wait_dscnt 0x1
	v_cmpx_ne_u64_e32 0, v[14:15]
	s_cbranch_execz .LBB18_20
; %bb.17:                               ;   in Loop: Header=BB18_4 Depth=1
	v_cmp_ne_u64_e32 vcc_lo, 0, v[12:13]
	s_wait_dscnt 0x0
	v_cmp_ngt_f32_e64 s4, v22, v23
	v_mov_b32_e32 v24, v23
	s_and_b32 s18, vcc_lo, s4
	s_delay_alu instid0(SALU_CYCLE_1)
	s_and_saveexec_b32 s4, s18
	s_cbranch_execz .LBB18_19
; %bb.18:                               ;   in Loop: Header=BB18_4 Depth=1
	v_min_i64 v[14:15], v[14:15], v[12:13]
	v_cmp_eq_f32_e32 vcc_lo, v22, v23
	v_dual_mov_b32 v24, v22 :: v_dual_mov_b32 v23, v21
	s_delay_alu instid0(VALU_DEP_3)
	v_dual_cndmask_b32 v14, v12, v14 :: v_dual_cndmask_b32 v15, v13, v15
.LBB18_19:                              ;   in Loop: Header=BB18_4 Depth=1
	s_or_b32 exec_lo, exec_lo, s4
	s_delay_alu instid0(VALU_DEP_1) | instskip(NEXT) | instid1(VALU_DEP_2)
	v_mov_b64_e32 v[12:13], v[14:15]
	v_dual_mov_b32 v21, v23 :: v_dual_mov_b32 v22, v24
.LBB18_20:                              ;   in Loop: Header=BB18_4 Depth=1
	s_or_b32 exec_lo, exec_lo, s5
	ds_bpermute_b32 v14, v18, v12
	ds_bpermute_b32 v15, v18, v13
	s_wait_dscnt 0x2
	ds_bpermute_b32 v23, v18, v21
	s_mov_b32 s5, exec_lo
	s_wait_dscnt 0x1
	v_cmpx_ne_u64_e32 0, v[14:15]
	s_cbranch_execz .LBB18_24
; %bb.21:                               ;   in Loop: Header=BB18_4 Depth=1
	v_cmp_ne_u64_e32 vcc_lo, 0, v[12:13]
	s_wait_dscnt 0x0
	v_cmp_ngt_f32_e64 s4, v22, v23
	v_mov_b32_e32 v24, v23
	s_and_b32 s18, vcc_lo, s4
	s_delay_alu instid0(SALU_CYCLE_1)
	s_and_saveexec_b32 s4, s18
	s_cbranch_execz .LBB18_23
; %bb.22:                               ;   in Loop: Header=BB18_4 Depth=1
	v_min_i64 v[14:15], v[14:15], v[12:13]
	v_cmp_eq_f32_e32 vcc_lo, v22, v23
	v_dual_mov_b32 v24, v22 :: v_dual_mov_b32 v23, v21
	s_delay_alu instid0(VALU_DEP_3)
	v_dual_cndmask_b32 v14, v12, v14 :: v_dual_cndmask_b32 v15, v13, v15
.LBB18_23:                              ;   in Loop: Header=BB18_4 Depth=1
	s_or_b32 exec_lo, exec_lo, s4
	s_delay_alu instid0(VALU_DEP_1) | instskip(NEXT) | instid1(VALU_DEP_2)
	v_mov_b64_e32 v[12:13], v[14:15]
	v_dual_mov_b32 v21, v23 :: v_dual_mov_b32 v22, v24
.LBB18_24:                              ;   in Loop: Header=BB18_4 Depth=1
	s_or_b32 exec_lo, exec_lo, s5
	ds_bpermute_b32 v14, v19, v12
	ds_bpermute_b32 v15, v19, v13
	;; [unrolled: 1-line block ×3, first 2 shown]
	s_mov_b32 s18, exec_lo
	s_wait_dscnt 0x1
	v_cmpx_ne_u64_e32 0, v[14:15]
	s_cbranch_execz .LBB18_26
; %bb.25:                               ;   in Loop: Header=BB18_4 Depth=1
	v_min_i64 v[24:25], v[14:15], v[12:13]
	s_wait_dscnt 0x0
	v_cmp_eq_f32_e32 vcc_lo, v22, v21
	v_cmp_eq_u64_e64 s4, 0, v[12:13]
	v_cmp_gt_f32_e64 s5, v22, v21
	s_delay_alu instid0(VALU_DEP_4)
	v_dual_cndmask_b32 v12, v12, v24 :: v_dual_cndmask_b32 v13, v13, v25
	s_or_b32 vcc_lo, s4, s5
	s_delay_alu instid0(VALU_DEP_1) | instid1(SALU_CYCLE_1)
	v_dual_cndmask_b32 v22, v22, v21, vcc_lo :: v_dual_cndmask_b32 v12, v12, v14, vcc_lo
	s_delay_alu instid0(VALU_DEP_2)
	v_cndmask_b32_e32 v13, v13, v15, vcc_lo
.LBB18_26:                              ;   in Loop: Header=BB18_4 Depth=1
	s_or_b32 exec_lo, exec_lo, s18
	s_and_saveexec_b32 s4, s3
	s_cbranch_execz .LBB18_28
; %bb.27:                               ;   in Loop: Header=BB18_4 Depth=1
	ds_store_b64 v20, v[12:13]
	ds_store_b32 v20, v22 offset:8
.LBB18_28:                              ;   in Loop: Header=BB18_4 Depth=1
	s_or_b32 exec_lo, exec_lo, s4
	v_mov_b64_e32 v[12:13], 0
	s_wait_dscnt 0x0
	v_mov_b32_e32 v21, 0
	s_barrier_signal -1
	s_barrier_wait -1
	s_and_saveexec_b32 s4, s2
	s_cbranch_execz .LBB18_30
; %bb.29:                               ;   in Loop: Header=BB18_4 Depth=1
	ds_load_b64 v[12:13], v1
	ds_load_b32 v21, v1 offset:8
.LBB18_30:                              ;   in Loop: Header=BB18_4 Depth=1
	s_or_b32 exec_lo, exec_lo, s4
	s_and_saveexec_b32 s18, s2
	s_cbranch_execz .LBB18_50
; %bb.31:                               ;   in Loop: Header=BB18_4 Depth=1
	s_wait_dscnt 0x1
	ds_bpermute_b32 v14, v5, v12
	ds_bpermute_b32 v15, v5, v13
	s_wait_dscnt 0x2
	ds_bpermute_b32 v23, v5, v21
	v_mov_b32_e32 v22, v21
	s_mov_b32 s5, exec_lo
	s_wait_dscnt 0x1
	v_cmpx_ne_u64_e32 0, v[14:15]
	s_cbranch_execz .LBB18_35
; %bb.32:                               ;   in Loop: Header=BB18_4 Depth=1
	v_cmp_ne_u64_e32 vcc_lo, 0, v[12:13]
	s_wait_dscnt 0x0
	v_cmp_ngt_f32_e64 s4, v21, v23
	s_and_b32 s19, vcc_lo, s4
	s_delay_alu instid0(SALU_CYCLE_1)
	s_and_saveexec_b32 s4, s19
	s_cbranch_execz .LBB18_34
; %bb.33:                               ;   in Loop: Header=BB18_4 Depth=1
	v_min_i64 v[14:15], v[14:15], v[12:13]
	v_cmp_eq_f32_e32 vcc_lo, v21, v23
	v_mov_b32_e32 v23, v21
	s_delay_alu instid0(VALU_DEP_3)
	v_dual_cndmask_b32 v15, v13, v15 :: v_dual_cndmask_b32 v14, v12, v14
.LBB18_34:                              ;   in Loop: Header=BB18_4 Depth=1
	s_or_b32 exec_lo, exec_lo, s4
	s_delay_alu instid0(VALU_DEP_1) | instskip(NEXT) | instid1(VALU_DEP_3)
	v_mov_b64_e32 v[12:13], v[14:15]
	v_dual_mov_b32 v21, v23 :: v_dual_mov_b32 v22, v23
.LBB18_35:                              ;   in Loop: Header=BB18_4 Depth=1
	s_or_b32 exec_lo, exec_lo, s5
	ds_bpermute_b32 v14, v16, v12
	ds_bpermute_b32 v15, v16, v13
	s_wait_dscnt 0x2
	ds_bpermute_b32 v23, v16, v21
	s_mov_b32 s5, exec_lo
	s_wait_dscnt 0x1
	v_cmpx_ne_u64_e32 0, v[14:15]
	s_cbranch_execz .LBB18_39
; %bb.36:                               ;   in Loop: Header=BB18_4 Depth=1
	v_cmp_ne_u64_e32 vcc_lo, 0, v[12:13]
	s_wait_dscnt 0x0
	v_cmp_ngt_f32_e64 s4, v22, v23
	v_mov_b32_e32 v24, v23
	s_and_b32 s19, vcc_lo, s4
	s_delay_alu instid0(SALU_CYCLE_1)
	s_and_saveexec_b32 s4, s19
	s_cbranch_execz .LBB18_38
; %bb.37:                               ;   in Loop: Header=BB18_4 Depth=1
	v_min_i64 v[14:15], v[14:15], v[12:13]
	v_cmp_eq_f32_e32 vcc_lo, v22, v23
	v_dual_mov_b32 v24, v22 :: v_dual_mov_b32 v23, v21
	s_delay_alu instid0(VALU_DEP_3)
	v_dual_cndmask_b32 v14, v12, v14 :: v_dual_cndmask_b32 v15, v13, v15
.LBB18_38:                              ;   in Loop: Header=BB18_4 Depth=1
	s_or_b32 exec_lo, exec_lo, s4
	s_delay_alu instid0(VALU_DEP_1) | instskip(NEXT) | instid1(VALU_DEP_2)
	v_mov_b64_e32 v[12:13], v[14:15]
	v_dual_mov_b32 v21, v23 :: v_dual_mov_b32 v22, v24
.LBB18_39:                              ;   in Loop: Header=BB18_4 Depth=1
	s_or_b32 exec_lo, exec_lo, s5
	ds_bpermute_b32 v14, v17, v12
	ds_bpermute_b32 v15, v17, v13
	s_wait_dscnt 0x2
	ds_bpermute_b32 v23, v17, v21
	s_mov_b32 s5, exec_lo
	s_wait_dscnt 0x1
	v_cmpx_ne_u64_e32 0, v[14:15]
	s_cbranch_execz .LBB18_43
; %bb.40:                               ;   in Loop: Header=BB18_4 Depth=1
	v_cmp_ne_u64_e32 vcc_lo, 0, v[12:13]
	s_wait_dscnt 0x0
	v_cmp_ngt_f32_e64 s4, v22, v23
	v_mov_b32_e32 v24, v23
	s_and_b32 s19, vcc_lo, s4
	s_delay_alu instid0(SALU_CYCLE_1)
	s_and_saveexec_b32 s4, s19
	s_cbranch_execz .LBB18_42
; %bb.41:                               ;   in Loop: Header=BB18_4 Depth=1
	v_min_i64 v[14:15], v[14:15], v[12:13]
	v_cmp_eq_f32_e32 vcc_lo, v22, v23
	v_dual_mov_b32 v24, v22 :: v_dual_mov_b32 v23, v21
	s_delay_alu instid0(VALU_DEP_3)
	v_dual_cndmask_b32 v14, v12, v14 :: v_dual_cndmask_b32 v15, v13, v15
.LBB18_42:                              ;   in Loop: Header=BB18_4 Depth=1
	s_or_b32 exec_lo, exec_lo, s4
	s_delay_alu instid0(VALU_DEP_1) | instskip(NEXT) | instid1(VALU_DEP_2)
	v_mov_b64_e32 v[12:13], v[14:15]
	v_dual_mov_b32 v21, v23 :: v_dual_mov_b32 v22, v24
.LBB18_43:                              ;   in Loop: Header=BB18_4 Depth=1
	;; [unrolled: 30-line block ×3, first 2 shown]
	s_or_b32 exec_lo, exec_lo, s5
	ds_bpermute_b32 v14, v19, v12
	ds_bpermute_b32 v15, v19, v13
	;; [unrolled: 1-line block ×3, first 2 shown]
	s_mov_b32 s19, exec_lo
	s_wait_dscnt 0x1
	v_cmpx_ne_u64_e32 0, v[14:15]
	s_cbranch_execz .LBB18_49
; %bb.48:                               ;   in Loop: Header=BB18_4 Depth=1
	v_min_i64 v[24:25], v[14:15], v[12:13]
	s_wait_dscnt 0x0
	v_cmp_eq_f32_e32 vcc_lo, v22, v21
	v_cmp_eq_u64_e64 s4, 0, v[12:13]
	v_cmp_gt_f32_e64 s5, v22, v21
	s_delay_alu instid0(VALU_DEP_4)
	v_dual_cndmask_b32 v12, v12, v24 :: v_dual_cndmask_b32 v13, v13, v25
	s_or_b32 vcc_lo, s4, s5
	s_delay_alu instid0(VALU_DEP_1) | instid1(SALU_CYCLE_1)
	v_dual_cndmask_b32 v22, v22, v21, vcc_lo :: v_dual_cndmask_b32 v12, v12, v14, vcc_lo
	s_delay_alu instid0(VALU_DEP_2)
	v_cndmask_b32_e32 v13, v13, v15, vcc_lo
.LBB18_49:                              ;   in Loop: Header=BB18_4 Depth=1
	s_or_b32 exec_lo, exec_lo, s19
	s_wait_dscnt 0x0
	s_delay_alu instid0(VALU_DEP_2)
	v_mov_b32_e32 v21, v22
.LBB18_50:                              ;   in Loop: Header=BB18_4 Depth=1
	s_or_b32 exec_lo, exec_lo, s18
	s_wait_dscnt 0x1
	v_cmp_ne_u64_e32 vcc_lo, 0, v[12:13]
	s_and_b32 s4, s7, vcc_lo
	s_delay_alu instid0(SALU_CYCLE_1)
	s_and_saveexec_b32 s5, s4
	s_cbranch_execz .LBB18_3
; %bb.51:                               ;   in Loop: Header=BB18_4 Depth=1
	v_cmp_ne_u64_e32 vcc_lo, 0, v[2:3]
	s_wait_dscnt 0x0
	v_cmp_nlt_f32_e64 s4, v21, v4
	v_mov_b32_e32 v14, v21
	s_and_b32 s18, vcc_lo, s4
	s_delay_alu instid0(SALU_CYCLE_1)
	s_and_saveexec_b32 s4, s18
	s_cbranch_execz .LBB18_2
; %bb.52:                               ;   in Loop: Header=BB18_4 Depth=1
	v_min_i64 v[12:13], v[12:13], v[2:3]
	v_cmp_eq_f32_e32 vcc_lo, v4, v21
	s_delay_alu instid0(VALU_DEP_2) | instskip(NEXT) | instid1(VALU_DEP_3)
	v_dual_mov_b32 v14, v4 :: v_dual_cndmask_b32 v13, v3, v13
	v_cndmask_b32_e32 v12, v2, v12, vcc_lo
	s_branch .LBB18_2
.LBB18_53:
	v_mov_b64_e32 v[2:3], 0
.LBB18_54:
	s_mov_b32 s3, 0
	s_mov_b32 s2, exec_lo
	v_cmpx_eq_u32_e32 0, v0
	s_cbranch_execz .LBB18_56
; %bb.55:
	s_load_b96 s[8:10], s[0:1], 0x28
	s_mov_b32 s7, s3
	v_mov_b32_e32 v0, 0
	s_wait_kmcnt 0x0
	s_mov_b32 s2, s10
	s_delay_alu instid0(SALU_CYCLE_1) | instskip(SKIP_2) | instid1(SALU_CYCLE_1)
	s_mul_u64 s[0:1], s[2:3], s[16:17]
	s_lshl_b64 s[2:3], s[6:7], 4
	s_lshl_b64 s[0:1], s[0:1], 4
	s_add_nc_u64 s[0:1], s[8:9], s[0:1]
	s_delay_alu instid0(SALU_CYCLE_1)
	s_add_nc_u64 s[0:1], s[0:1], s[2:3]
	global_store_b96 v0, v[2:4], s[0:1]
.LBB18_56:
	s_endpgm
	.section	.rodata,"a",@progbits
	.p2align	6, 0x0
	.amdhsa_kernel _ZL35rocblas_iamax_iamin_kernel_part1_64ILi1024E26rocblas_fetch_amax_amin_64IfE22rocblas_reduce_amin_64PKPK19rocblas_complex_numIfE24rocblas_index_64_value_tIfEEvlT2_lllPT3_
		.amdhsa_group_segment_fixed_size 512
		.amdhsa_private_segment_fixed_size 0
		.amdhsa_kernarg_size 304
		.amdhsa_user_sgpr_count 2
		.amdhsa_user_sgpr_dispatch_ptr 0
		.amdhsa_user_sgpr_queue_ptr 0
		.amdhsa_user_sgpr_kernarg_segment_ptr 1
		.amdhsa_user_sgpr_dispatch_id 0
		.amdhsa_user_sgpr_kernarg_preload_length 0
		.amdhsa_user_sgpr_kernarg_preload_offset 0
		.amdhsa_user_sgpr_private_segment_size 0
		.amdhsa_wavefront_size32 1
		.amdhsa_uses_dynamic_stack 0
		.amdhsa_enable_private_segment 0
		.amdhsa_system_sgpr_workgroup_id_x 1
		.amdhsa_system_sgpr_workgroup_id_y 0
		.amdhsa_system_sgpr_workgroup_id_z 1
		.amdhsa_system_sgpr_workgroup_info 0
		.amdhsa_system_vgpr_workitem_id 0
		.amdhsa_next_free_vgpr 26
		.amdhsa_next_free_sgpr 20
		.amdhsa_named_barrier_count 0
		.amdhsa_reserve_vcc 1
		.amdhsa_float_round_mode_32 0
		.amdhsa_float_round_mode_16_64 0
		.amdhsa_float_denorm_mode_32 3
		.amdhsa_float_denorm_mode_16_64 3
		.amdhsa_fp16_overflow 0
		.amdhsa_memory_ordered 1
		.amdhsa_forward_progress 1
		.amdhsa_inst_pref_size 17
		.amdhsa_round_robin_scheduling 0
		.amdhsa_exception_fp_ieee_invalid_op 0
		.amdhsa_exception_fp_denorm_src 0
		.amdhsa_exception_fp_ieee_div_zero 0
		.amdhsa_exception_fp_ieee_overflow 0
		.amdhsa_exception_fp_ieee_underflow 0
		.amdhsa_exception_fp_ieee_inexact 0
		.amdhsa_exception_int_div_zero 0
	.end_amdhsa_kernel
	.section	.text._ZL35rocblas_iamax_iamin_kernel_part1_64ILi1024E26rocblas_fetch_amax_amin_64IfE22rocblas_reduce_amin_64PKPK19rocblas_complex_numIfE24rocblas_index_64_value_tIfEEvlT2_lllPT3_,"axG",@progbits,_ZL35rocblas_iamax_iamin_kernel_part1_64ILi1024E26rocblas_fetch_amax_amin_64IfE22rocblas_reduce_amin_64PKPK19rocblas_complex_numIfE24rocblas_index_64_value_tIfEEvlT2_lllPT3_,comdat
.Lfunc_end18:
	.size	_ZL35rocblas_iamax_iamin_kernel_part1_64ILi1024E26rocblas_fetch_amax_amin_64IfE22rocblas_reduce_amin_64PKPK19rocblas_complex_numIfE24rocblas_index_64_value_tIfEEvlT2_lllPT3_, .Lfunc_end18-_ZL35rocblas_iamax_iamin_kernel_part1_64ILi1024E26rocblas_fetch_amax_amin_64IfE22rocblas_reduce_amin_64PKPK19rocblas_complex_numIfE24rocblas_index_64_value_tIfEEvlT2_lllPT3_
                                        ; -- End function
	.set _ZL35rocblas_iamax_iamin_kernel_part1_64ILi1024E26rocblas_fetch_amax_amin_64IfE22rocblas_reduce_amin_64PKPK19rocblas_complex_numIfE24rocblas_index_64_value_tIfEEvlT2_lllPT3_.num_vgpr, 26
	.set _ZL35rocblas_iamax_iamin_kernel_part1_64ILi1024E26rocblas_fetch_amax_amin_64IfE22rocblas_reduce_amin_64PKPK19rocblas_complex_numIfE24rocblas_index_64_value_tIfEEvlT2_lllPT3_.num_agpr, 0
	.set _ZL35rocblas_iamax_iamin_kernel_part1_64ILi1024E26rocblas_fetch_amax_amin_64IfE22rocblas_reduce_amin_64PKPK19rocblas_complex_numIfE24rocblas_index_64_value_tIfEEvlT2_lllPT3_.numbered_sgpr, 20
	.set _ZL35rocblas_iamax_iamin_kernel_part1_64ILi1024E26rocblas_fetch_amax_amin_64IfE22rocblas_reduce_amin_64PKPK19rocblas_complex_numIfE24rocblas_index_64_value_tIfEEvlT2_lllPT3_.num_named_barrier, 0
	.set _ZL35rocblas_iamax_iamin_kernel_part1_64ILi1024E26rocblas_fetch_amax_amin_64IfE22rocblas_reduce_amin_64PKPK19rocblas_complex_numIfE24rocblas_index_64_value_tIfEEvlT2_lllPT3_.private_seg_size, 0
	.set _ZL35rocblas_iamax_iamin_kernel_part1_64ILi1024E26rocblas_fetch_amax_amin_64IfE22rocblas_reduce_amin_64PKPK19rocblas_complex_numIfE24rocblas_index_64_value_tIfEEvlT2_lllPT3_.uses_vcc, 1
	.set _ZL35rocblas_iamax_iamin_kernel_part1_64ILi1024E26rocblas_fetch_amax_amin_64IfE22rocblas_reduce_amin_64PKPK19rocblas_complex_numIfE24rocblas_index_64_value_tIfEEvlT2_lllPT3_.uses_flat_scratch, 0
	.set _ZL35rocblas_iamax_iamin_kernel_part1_64ILi1024E26rocblas_fetch_amax_amin_64IfE22rocblas_reduce_amin_64PKPK19rocblas_complex_numIfE24rocblas_index_64_value_tIfEEvlT2_lllPT3_.has_dyn_sized_stack, 0
	.set _ZL35rocblas_iamax_iamin_kernel_part1_64ILi1024E26rocblas_fetch_amax_amin_64IfE22rocblas_reduce_amin_64PKPK19rocblas_complex_numIfE24rocblas_index_64_value_tIfEEvlT2_lllPT3_.has_recursion, 0
	.set _ZL35rocblas_iamax_iamin_kernel_part1_64ILi1024E26rocblas_fetch_amax_amin_64IfE22rocblas_reduce_amin_64PKPK19rocblas_complex_numIfE24rocblas_index_64_value_tIfEEvlT2_lllPT3_.has_indirect_call, 0
	.section	.AMDGPU.csdata,"",@progbits
; Kernel info:
; codeLenInByte = 2104
; TotalNumSgprs: 22
; NumVgprs: 26
; ScratchSize: 0
; MemoryBound: 0
; FloatMode: 240
; IeeeMode: 1
; LDSByteSize: 512 bytes/workgroup (compile time only)
; SGPRBlocks: 0
; VGPRBlocks: 1
; NumSGPRsForWavesPerEU: 22
; NumVGPRsForWavesPerEU: 26
; NamedBarCnt: 0
; Occupancy: 16
; WaveLimiterHint : 0
; COMPUTE_PGM_RSRC2:SCRATCH_EN: 0
; COMPUTE_PGM_RSRC2:USER_SGPR: 2
; COMPUTE_PGM_RSRC2:TRAP_HANDLER: 0
; COMPUTE_PGM_RSRC2:TGID_X_EN: 1
; COMPUTE_PGM_RSRC2:TGID_Y_EN: 0
; COMPUTE_PGM_RSRC2:TGID_Z_EN: 1
; COMPUTE_PGM_RSRC2:TIDIG_COMP_CNT: 0
	.section	.text._ZL35rocblas_iamax_iamin_kernel_part1_64ILi1024E26rocblas_fetch_amax_amin_64IdE22rocblas_reduce_amin_64PKPK19rocblas_complex_numIdE24rocblas_index_64_value_tIdEEvlT2_lllPT3_,"axG",@progbits,_ZL35rocblas_iamax_iamin_kernel_part1_64ILi1024E26rocblas_fetch_amax_amin_64IdE22rocblas_reduce_amin_64PKPK19rocblas_complex_numIdE24rocblas_index_64_value_tIdEEvlT2_lllPT3_,comdat
	.globl	_ZL35rocblas_iamax_iamin_kernel_part1_64ILi1024E26rocblas_fetch_amax_amin_64IdE22rocblas_reduce_amin_64PKPK19rocblas_complex_numIdE24rocblas_index_64_value_tIdEEvlT2_lllPT3_ ; -- Begin function _ZL35rocblas_iamax_iamin_kernel_part1_64ILi1024E26rocblas_fetch_amax_amin_64IdE22rocblas_reduce_amin_64PKPK19rocblas_complex_numIdE24rocblas_index_64_value_tIdEEvlT2_lllPT3_
	.p2align	8
	.type	_ZL35rocblas_iamax_iamin_kernel_part1_64ILi1024E26rocblas_fetch_amax_amin_64IdE22rocblas_reduce_amin_64PKPK19rocblas_complex_numIdE24rocblas_index_64_value_tIdEEvlT2_lllPT3_,@function
_ZL35rocblas_iamax_iamin_kernel_part1_64ILi1024E26rocblas_fetch_amax_amin_64IdE22rocblas_reduce_amin_64PKPK19rocblas_complex_numIdE24rocblas_index_64_value_tIdEEvlT2_lllPT3_: ; @_ZL35rocblas_iamax_iamin_kernel_part1_64ILi1024E26rocblas_fetch_amax_amin_64IdE22rocblas_reduce_amin_64PKPK19rocblas_complex_numIdE24rocblas_index_64_value_tIdEEvlT2_lllPT3_
; %bb.0:
	s_load_b256 s[8:15], s[0:1], 0x0
	s_bfe_u32 s2, ttmp6, 0x40014
	s_lshr_b32 s3, ttmp7, 16
	s_add_co_i32 s2, s2, 1
	s_bfe_u32 s5, ttmp6, 0x4000c
	s_mul_i32 s2, s3, s2
	s_bfe_u32 s4, ttmp6, 0x40008
	s_add_co_i32 s5, s5, 1
	s_add_co_i32 s4, s4, s2
	s_and_b32 s2, ttmp6, 15
	s_mul_i32 s5, ttmp9, s5
	s_getreg_b32 s6, hwreg(HW_REG_IB_STS2, 6, 4)
	s_add_co_i32 s2, s2, s5
	s_cmp_eq_u32 s6, 0
	s_cselect_b32 s16, ttmp9, s2
	s_cselect_b32 s6, s3, s4
	s_wait_kmcnt 0x0
	v_cmp_lt_i64_e64 s7, s[8:9], 1
	s_and_b32 vcc_lo, exec_lo, s7
	s_mov_b32 s7, 0
	s_cbranch_vccnz .LBB19_53
; %bb.1:
	v_dual_mov_b32 v2, 0 :: v_dual_bitop2_b32 v3, 31, v0 bitop3:0x40
	v_lshl_or_b32 v18, s16, 10, v0
	v_mbcnt_lo_u32_b32 v6, -1, 0
	s_load_b64 s[4:5], s[10:11], s6 offset:0x0 scale_offset
	s_delay_alu instid0(VALU_DEP_3)
	v_dual_mov_b32 v19, v2 :: v_dual_lshrrev_b32 v8, 1, v0
	s_wait_xcnt 0x0
	s_load_b32 s10, s[0:1], 0x30
	v_cmp_gt_u32_e64 s3, 24, v6
	s_lshl_b64 s[12:13], s[12:13], 4
	v_mul_u64_e32 v[4:5], s[14:15], v[18:19]
	v_cmp_ne_u32_e32 vcc_lo, 0, v0
	v_lshl_or_b32 v24, v6, 2, 64
	v_cndmask_b32_e64 v7, 0, 8, s3
	v_cmp_gt_u32_e64 s3, 28, v6
	s_mov_b32 s11, s7
	v_cmp_gt_u32_e64 s2, 32, v0
	v_lshlrev_b32_e32 v1, 4, v3
	v_add_lshl_u32 v25, v7, v6, 2
	v_cndmask_b32_e64 v9, 0, 4, s3
	v_cmp_gt_u32_e64 s3, 30, v6
	v_and_b32_e32 v29, 0x1f0, v8
	s_xor_b32 s17, vcc_lo, -1
                                        ; implicit-def: $vgpr12_vgpr13
	s_wait_kmcnt 0x0
	s_add_nc_u64 s[4:5], s[4:5], s[12:13]
	v_cndmask_b32_e64 v10, 0, 2, s3
	v_cmp_ne_u32_e64 s3, 31, v6
	v_add_lshl_u32 v26, v9, v6, 2
	s_lshl_b32 s10, s10, 10
	v_add_lshl_u32 v27, v10, v6, 2
	v_add_co_ci_u32_e64 v11, null, 0, v6, s3
	v_mov_b64_e32 v[6:7], 0
	v_cmp_eq_u32_e64 s3, 0, v3
	s_delay_alu instid0(VALU_DEP_3) | instskip(SKIP_4) | instid1(VALU_DEP_1)
	v_lshlrev_b32_e32 v28, 2, v11
	v_lshl_add_u64 v[4:5], v[4:5], 4, s[4:5]
	s_mul_u64 s[4:5], s[14:15], s[10:11]
	s_mov_b64 s[14:15], 0
	s_lshl_b64 s[12:13], s[4:5], 4
	v_add_nc_u64_e32 v[20:21], 8, v[4:5]
	s_branch .LBB19_4
.LBB19_2:                               ;   in Loop: Header=BB19_4 Depth=1
	s_or_b32 exec_lo, exec_lo, s4
	s_delay_alu instid0(VALU_DEP_2) | instskip(NEXT) | instid1(VALU_DEP_2)
	v_mov_b64_e32 v[6:7], v[10:11]
	v_mov_b64_e32 v[8:9], v[4:5]
.LBB19_3:                               ;   in Loop: Header=BB19_4 Depth=1
	s_or_b32 exec_lo, exec_lo, s5
	s_add_nc_u64 s[14:15], s[14:15], s[10:11]
	v_add_nc_u64_e32 v[20:21], s[12:13], v[20:21]
	v_cmp_ge_i64_e64 s4, s[14:15], s[8:9]
	s_and_b32 vcc_lo, exec_lo, s4
	s_cbranch_vccnz .LBB19_54
.LBB19_4:                               ; =>This Inner Loop Header: Depth=1
	v_add_nc_u64_e32 v[4:5], s[14:15], v[18:19]
	v_mov_b64_e32 v[14:15], 0
	s_mov_b32 s4, exec_lo
	s_delay_alu instid0(VALU_DEP_2)
	v_cmpx_gt_i64_e64 s[8:9], v[4:5]
	s_cbranch_execz .LBB19_6
; %bb.5:                                ;   in Loop: Header=BB19_4 Depth=1
	flat_load_b128 v[10:13], v[20:21] offset:-8
	s_wait_loadcnt_dscnt 0x0
	v_cmp_gt_f64_e32 vcc_lo, 0, v[10:11]
	v_xor_b32_e32 v3, 0x80000000, v11
	v_xor_b32_e32 v14, 0x80000000, v13
	s_delay_alu instid0(VALU_DEP_2) | instskip(SKIP_1) | instid1(VALU_DEP_3)
	v_cndmask_b32_e32 v11, v11, v3, vcc_lo
	v_cmp_gt_f64_e32 vcc_lo, 0, v[12:13]
	v_cndmask_b32_e32 v13, v13, v14, vcc_lo
	v_add_nc_u64_e32 v[14:15], 1, v[4:5]
	s_delay_alu instid0(VALU_DEP_2)
	v_add_f64_e32 v[12:13], v[10:11], v[12:13]
.LBB19_6:                               ;   in Loop: Header=BB19_4 Depth=1
	s_or_b32 exec_lo, exec_lo, s4
	s_and_saveexec_b32 s4, s2
; %bb.7:                                ;   in Loop: Header=BB19_4 Depth=1
	v_dual_mov_b32 v3, v2 :: v_dual_mov_b32 v4, v2
	v_mov_b32_e32 v5, v2
	ds_store_b128 v1, v[2:5]
; %bb.8:                                ;   in Loop: Header=BB19_4 Depth=1
	s_or_b32 exec_lo, exec_lo, s4
	ds_bpermute_b32 v4, v24, v14
	ds_bpermute_b32 v5, v24, v15
	;; [unrolled: 1-line block ×4, first 2 shown]
	v_mov_b64_e32 v[16:17], v[12:13]
	s_mov_b32 s5, exec_lo
	s_wait_dscnt 0x0
	s_barrier_signal -1
	s_barrier_wait -1
	v_cmpx_ne_u64_e32 0, v[4:5]
	s_cbranch_execz .LBB19_12
; %bb.9:                                ;   in Loop: Header=BB19_4 Depth=1
	v_cmp_ngt_f64_e32 vcc_lo, v[12:13], v[10:11]
	v_cmp_ne_u64_e64 s4, 0, v[14:15]
	v_mov_b64_e32 v[16:17], v[10:11]
	s_and_b32 s18, s4, vcc_lo
	s_delay_alu instid0(SALU_CYCLE_1)
	s_and_saveexec_b32 s4, s18
	s_cbranch_execz .LBB19_11
; %bb.10:                               ;   in Loop: Header=BB19_4 Depth=1
	v_min_i64 v[4:5], v[4:5], v[14:15]
	v_cmp_eq_f64_e32 vcc_lo, v[12:13], v[10:11]
	v_mov_b64_e32 v[16:17], v[12:13]
	v_dual_mov_b32 v10, v12 :: v_dual_mov_b32 v11, v13
	s_delay_alu instid0(VALU_DEP_4)
	v_dual_cndmask_b32 v4, v14, v4 :: v_dual_cndmask_b32 v5, v15, v5
.LBB19_11:                              ;   in Loop: Header=BB19_4 Depth=1
	s_or_b32 exec_lo, exec_lo, s4
	s_delay_alu instid0(VALU_DEP_1) | instskip(NEXT) | instid1(VALU_DEP_3)
	v_mov_b64_e32 v[14:15], v[4:5]
	v_dual_mov_b32 v13, v11 :: v_dual_mov_b32 v12, v10
.LBB19_12:                              ;   in Loop: Header=BB19_4 Depth=1
	s_or_b32 exec_lo, exec_lo, s5
	ds_bpermute_b32 v4, v25, v14
	ds_bpermute_b32 v5, v25, v15
	;; [unrolled: 1-line block ×4, first 2 shown]
	s_mov_b32 s5, exec_lo
	s_wait_dscnt 0x2
	v_cmpx_ne_u64_e32 0, v[4:5]
	s_cbranch_execz .LBB19_16
; %bb.13:                               ;   in Loop: Header=BB19_4 Depth=1
	s_wait_dscnt 0x0
	v_cmp_ngt_f64_e32 vcc_lo, v[16:17], v[10:11]
	v_cmp_ne_u64_e64 s4, 0, v[14:15]
	v_mov_b64_e32 v[22:23], v[10:11]
	s_and_b32 s18, s4, vcc_lo
	s_delay_alu instid0(SALU_CYCLE_1)
	s_and_saveexec_b32 s4, s18
	s_cbranch_execz .LBB19_15
; %bb.14:                               ;   in Loop: Header=BB19_4 Depth=1
	v_min_i64 v[4:5], v[4:5], v[14:15]
	v_cmp_eq_f64_e32 vcc_lo, v[16:17], v[10:11]
	v_mov_b64_e32 v[22:23], v[16:17]
	v_dual_mov_b32 v10, v12 :: v_dual_mov_b32 v11, v13
	s_delay_alu instid0(VALU_DEP_4)
	v_dual_cndmask_b32 v4, v14, v4 :: v_dual_cndmask_b32 v5, v15, v5
.LBB19_15:                              ;   in Loop: Header=BB19_4 Depth=1
	s_or_b32 exec_lo, exec_lo, s4
	s_delay_alu instid0(VALU_DEP_1) | instskip(NEXT) | instid1(VALU_DEP_2)
	v_mov_b64_e32 v[14:15], v[4:5]
	v_mov_b64_e32 v[16:17], v[22:23]
	v_dual_mov_b32 v13, v11 :: v_dual_mov_b32 v12, v10
.LBB19_16:                              ;   in Loop: Header=BB19_4 Depth=1
	s_or_b32 exec_lo, exec_lo, s5
	ds_bpermute_b32 v4, v26, v14
	ds_bpermute_b32 v5, v26, v15
	s_wait_dscnt 0x3
	ds_bpermute_b32 v10, v26, v12
	s_wait_dscnt 0x3
	ds_bpermute_b32 v11, v26, v13
	s_mov_b32 s5, exec_lo
	s_wait_dscnt 0x2
	v_cmpx_ne_u64_e32 0, v[4:5]
	s_cbranch_execz .LBB19_20
; %bb.17:                               ;   in Loop: Header=BB19_4 Depth=1
	s_wait_dscnt 0x0
	v_cmp_ngt_f64_e32 vcc_lo, v[16:17], v[10:11]
	v_cmp_ne_u64_e64 s4, 0, v[14:15]
	v_mov_b64_e32 v[22:23], v[10:11]
	s_and_b32 s18, s4, vcc_lo
	s_delay_alu instid0(SALU_CYCLE_1)
	s_and_saveexec_b32 s4, s18
	s_cbranch_execz .LBB19_19
; %bb.18:                               ;   in Loop: Header=BB19_4 Depth=1
	v_min_i64 v[4:5], v[4:5], v[14:15]
	v_cmp_eq_f64_e32 vcc_lo, v[16:17], v[10:11]
	v_mov_b64_e32 v[22:23], v[16:17]
	v_dual_mov_b32 v10, v12 :: v_dual_mov_b32 v11, v13
	s_delay_alu instid0(VALU_DEP_4)
	v_dual_cndmask_b32 v4, v14, v4 :: v_dual_cndmask_b32 v5, v15, v5
.LBB19_19:                              ;   in Loop: Header=BB19_4 Depth=1
	s_or_b32 exec_lo, exec_lo, s4
	s_delay_alu instid0(VALU_DEP_1) | instskip(NEXT) | instid1(VALU_DEP_2)
	v_mov_b64_e32 v[14:15], v[4:5]
	v_mov_b64_e32 v[16:17], v[22:23]
	v_dual_mov_b32 v13, v11 :: v_dual_mov_b32 v12, v10
.LBB19_20:                              ;   in Loop: Header=BB19_4 Depth=1
	s_or_b32 exec_lo, exec_lo, s5
	ds_bpermute_b32 v4, v27, v14
	ds_bpermute_b32 v5, v27, v15
	s_wait_dscnt 0x3
	ds_bpermute_b32 v10, v27, v12
	s_wait_dscnt 0x3
	ds_bpermute_b32 v11, v27, v13
	s_mov_b32 s5, exec_lo
	s_wait_dscnt 0x2
	v_cmpx_ne_u64_e32 0, v[4:5]
	s_cbranch_execz .LBB19_24
; %bb.21:                               ;   in Loop: Header=BB19_4 Depth=1
	s_wait_dscnt 0x0
	v_cmp_ngt_f64_e32 vcc_lo, v[16:17], v[10:11]
	v_cmp_ne_u64_e64 s4, 0, v[14:15]
	v_mov_b64_e32 v[22:23], v[10:11]
	s_and_b32 s18, s4, vcc_lo
	s_delay_alu instid0(SALU_CYCLE_1)
	s_and_saveexec_b32 s4, s18
	s_cbranch_execz .LBB19_23
; %bb.22:                               ;   in Loop: Header=BB19_4 Depth=1
	v_min_i64 v[4:5], v[4:5], v[14:15]
	v_cmp_eq_f64_e32 vcc_lo, v[16:17], v[10:11]
	v_mov_b64_e32 v[22:23], v[16:17]
	v_dual_mov_b32 v10, v12 :: v_dual_mov_b32 v11, v13
	s_delay_alu instid0(VALU_DEP_4)
	v_dual_cndmask_b32 v4, v14, v4 :: v_dual_cndmask_b32 v5, v15, v5
.LBB19_23:                              ;   in Loop: Header=BB19_4 Depth=1
	s_or_b32 exec_lo, exec_lo, s4
	s_delay_alu instid0(VALU_DEP_1) | instskip(NEXT) | instid1(VALU_DEP_2)
	v_mov_b64_e32 v[14:15], v[4:5]
	v_mov_b64_e32 v[16:17], v[22:23]
	v_dual_mov_b32 v13, v11 :: v_dual_mov_b32 v12, v10
.LBB19_24:                              ;   in Loop: Header=BB19_4 Depth=1
	s_or_b32 exec_lo, exec_lo, s5
	s_wait_dscnt 0x1
	ds_bpermute_b32 v10, v28, v14
	s_wait_dscnt 0x1
	ds_bpermute_b32 v11, v28, v15
	ds_bpermute_b32 v4, v28, v12
	;; [unrolled: 1-line block ×3, first 2 shown]
	s_mov_b32 s18, exec_lo
	s_wait_dscnt 0x2
	v_cmpx_ne_u64_e32 0, v[10:11]
	s_cbranch_execz .LBB19_26
; %bb.25:                               ;   in Loop: Header=BB19_4 Depth=1
	v_min_i64 v[22:23], v[10:11], v[14:15]
	s_wait_dscnt 0x0
	v_mov_b32_e32 v5, v12
	v_cmp_eq_u64_e64 s5, 0, v[14:15]
	s_delay_alu instid0(VALU_DEP_2) | instskip(NEXT) | instid1(VALU_DEP_4)
	v_cmp_eq_f64_e32 vcc_lo, v[16:17], v[4:5]
	v_cndmask_b32_e32 v3, v14, v22, vcc_lo
	v_cmp_gt_f64_e64 s4, v[16:17], v[4:5]
	v_cndmask_b32_e32 v5, v15, v23, vcc_lo
	s_or_b32 vcc_lo, s5, s4
	v_dual_cndmask_b32 v14, v3, v10 :: v_dual_cndmask_b32 v17, v17, v12
	s_delay_alu instid0(VALU_DEP_2)
	v_dual_cndmask_b32 v15, v5, v11 :: v_dual_cndmask_b32 v16, v16, v4
.LBB19_26:                              ;   in Loop: Header=BB19_4 Depth=1
	s_or_b32 exec_lo, exec_lo, s18
	s_and_saveexec_b32 s4, s3
; %bb.27:                               ;   in Loop: Header=BB19_4 Depth=1
	ds_store_b128 v29, v[14:17]
; %bb.28:                               ;   in Loop: Header=BB19_4 Depth=1
	s_or_b32 exec_lo, exec_lo, s4
	s_wait_dscnt 0x0
	v_mov_b64_e32 v[12:13], 0
	v_mov_b64_e32 v[10:11], 0
	s_barrier_signal -1
	s_barrier_wait -1
	s_and_saveexec_b32 s4, s2
; %bb.29:                               ;   in Loop: Header=BB19_4 Depth=1
	ds_load_b128 v[10:13], v1
; %bb.30:                               ;   in Loop: Header=BB19_4 Depth=1
	s_or_b32 exec_lo, exec_lo, s4
	s_and_saveexec_b32 s18, s2
	s_cbranch_execz .LBB19_50
; %bb.31:                               ;   in Loop: Header=BB19_4 Depth=1
	s_wait_dscnt 0x0
	ds_bpermute_b32 v14, v24, v10
	ds_bpermute_b32 v15, v24, v11
	;; [unrolled: 1-line block ×4, first 2 shown]
	v_mov_b64_e32 v[4:5], v[12:13]
	s_mov_b32 s5, exec_lo
	s_wait_dscnt 0x2
	v_cmpx_ne_u64_e32 0, v[14:15]
	s_cbranch_execz .LBB19_35
; %bb.32:                               ;   in Loop: Header=BB19_4 Depth=1
	s_wait_dscnt 0x0
	v_cmp_ngt_f64_e32 vcc_lo, v[12:13], v[16:17]
	v_cmp_ne_u64_e64 s4, 0, v[10:11]
	v_mov_b64_e32 v[4:5], v[16:17]
	s_and_b32 s19, s4, vcc_lo
	s_delay_alu instid0(SALU_CYCLE_1)
	s_and_saveexec_b32 s4, s19
	s_cbranch_execz .LBB19_34
; %bb.33:                               ;   in Loop: Header=BB19_4 Depth=1
	v_min_i64 v[14:15], v[14:15], v[10:11]
	v_cmp_eq_f64_e32 vcc_lo, v[12:13], v[16:17]
	v_mov_b64_e32 v[4:5], v[12:13]
	v_dual_mov_b32 v16, v12 :: v_dual_mov_b32 v17, v13
	s_delay_alu instid0(VALU_DEP_4)
	v_dual_cndmask_b32 v14, v10, v14 :: v_dual_cndmask_b32 v15, v11, v15
.LBB19_34:                              ;   in Loop: Header=BB19_4 Depth=1
	s_or_b32 exec_lo, exec_lo, s4
	s_delay_alu instid0(VALU_DEP_1) | instskip(NEXT) | instid1(VALU_DEP_3)
	v_mov_b64_e32 v[10:11], v[14:15]
	v_dual_mov_b32 v13, v17 :: v_dual_mov_b32 v12, v16
.LBB19_35:                              ;   in Loop: Header=BB19_4 Depth=1
	s_or_b32 exec_lo, exec_lo, s5
	ds_bpermute_b32 v14, v25, v10
	ds_bpermute_b32 v15, v25, v11
	s_wait_dscnt 0x3
	ds_bpermute_b32 v16, v25, v12
	s_wait_dscnt 0x3
	ds_bpermute_b32 v17, v25, v13
	s_mov_b32 s5, exec_lo
	s_wait_dscnt 0x2
	v_cmpx_ne_u64_e32 0, v[14:15]
	s_cbranch_execz .LBB19_39
; %bb.36:                               ;   in Loop: Header=BB19_4 Depth=1
	s_wait_dscnt 0x0
	v_cmp_ngt_f64_e32 vcc_lo, v[4:5], v[16:17]
	v_cmp_ne_u64_e64 s4, 0, v[10:11]
	v_mov_b64_e32 v[22:23], v[16:17]
	s_and_b32 s19, s4, vcc_lo
	s_delay_alu instid0(SALU_CYCLE_1)
	s_and_saveexec_b32 s4, s19
	s_cbranch_execz .LBB19_38
; %bb.37:                               ;   in Loop: Header=BB19_4 Depth=1
	v_min_i64 v[14:15], v[14:15], v[10:11]
	v_cmp_eq_f64_e32 vcc_lo, v[4:5], v[16:17]
	v_mov_b64_e32 v[22:23], v[4:5]
	v_dual_mov_b32 v16, v12 :: v_dual_mov_b32 v17, v13
	s_delay_alu instid0(VALU_DEP_4)
	v_dual_cndmask_b32 v14, v10, v14 :: v_dual_cndmask_b32 v15, v11, v15
.LBB19_38:                              ;   in Loop: Header=BB19_4 Depth=1
	s_or_b32 exec_lo, exec_lo, s4
	s_delay_alu instid0(VALU_DEP_1) | instskip(NEXT) | instid1(VALU_DEP_2)
	v_mov_b64_e32 v[10:11], v[14:15]
	v_mov_b64_e32 v[4:5], v[22:23]
	v_dual_mov_b32 v13, v17 :: v_dual_mov_b32 v12, v16
.LBB19_39:                              ;   in Loop: Header=BB19_4 Depth=1
	s_or_b32 exec_lo, exec_lo, s5
	ds_bpermute_b32 v14, v26, v10
	ds_bpermute_b32 v15, v26, v11
	s_wait_dscnt 0x3
	ds_bpermute_b32 v16, v26, v12
	s_wait_dscnt 0x3
	ds_bpermute_b32 v17, v26, v13
	s_mov_b32 s5, exec_lo
	s_wait_dscnt 0x2
	v_cmpx_ne_u64_e32 0, v[14:15]
	s_cbranch_execz .LBB19_43
; %bb.40:                               ;   in Loop: Header=BB19_4 Depth=1
	s_wait_dscnt 0x0
	v_cmp_ngt_f64_e32 vcc_lo, v[4:5], v[16:17]
	v_cmp_ne_u64_e64 s4, 0, v[10:11]
	v_mov_b64_e32 v[22:23], v[16:17]
	s_and_b32 s19, s4, vcc_lo
	s_delay_alu instid0(SALU_CYCLE_1)
	s_and_saveexec_b32 s4, s19
	s_cbranch_execz .LBB19_42
; %bb.41:                               ;   in Loop: Header=BB19_4 Depth=1
	v_min_i64 v[14:15], v[14:15], v[10:11]
	v_cmp_eq_f64_e32 vcc_lo, v[4:5], v[16:17]
	v_mov_b64_e32 v[22:23], v[4:5]
	v_dual_mov_b32 v16, v12 :: v_dual_mov_b32 v17, v13
	s_delay_alu instid0(VALU_DEP_4)
	v_dual_cndmask_b32 v14, v10, v14 :: v_dual_cndmask_b32 v15, v11, v15
.LBB19_42:                              ;   in Loop: Header=BB19_4 Depth=1
	s_or_b32 exec_lo, exec_lo, s4
	s_delay_alu instid0(VALU_DEP_1) | instskip(NEXT) | instid1(VALU_DEP_2)
	v_mov_b64_e32 v[10:11], v[14:15]
	v_mov_b64_e32 v[4:5], v[22:23]
	v_dual_mov_b32 v13, v17 :: v_dual_mov_b32 v12, v16
.LBB19_43:                              ;   in Loop: Header=BB19_4 Depth=1
	s_or_b32 exec_lo, exec_lo, s5
	ds_bpermute_b32 v14, v27, v10
	ds_bpermute_b32 v15, v27, v11
	s_wait_dscnt 0x3
	ds_bpermute_b32 v16, v27, v12
	s_wait_dscnt 0x3
	ds_bpermute_b32 v17, v27, v13
	s_mov_b32 s5, exec_lo
	s_wait_dscnt 0x2
	v_cmpx_ne_u64_e32 0, v[14:15]
	s_cbranch_execz .LBB19_47
; %bb.44:                               ;   in Loop: Header=BB19_4 Depth=1
	s_wait_dscnt 0x0
	v_cmp_ngt_f64_e32 vcc_lo, v[4:5], v[16:17]
	v_cmp_ne_u64_e64 s4, 0, v[10:11]
	v_mov_b64_e32 v[22:23], v[16:17]
	s_and_b32 s19, s4, vcc_lo
	s_delay_alu instid0(SALU_CYCLE_1)
	s_and_saveexec_b32 s4, s19
	s_cbranch_execz .LBB19_46
; %bb.45:                               ;   in Loop: Header=BB19_4 Depth=1
	v_min_i64 v[14:15], v[14:15], v[10:11]
	v_cmp_eq_f64_e32 vcc_lo, v[4:5], v[16:17]
	v_mov_b64_e32 v[22:23], v[4:5]
	v_dual_mov_b32 v16, v12 :: v_dual_mov_b32 v17, v13
	s_delay_alu instid0(VALU_DEP_4)
	v_dual_cndmask_b32 v14, v10, v14 :: v_dual_cndmask_b32 v15, v11, v15
.LBB19_46:                              ;   in Loop: Header=BB19_4 Depth=1
	s_or_b32 exec_lo, exec_lo, s4
	s_delay_alu instid0(VALU_DEP_1) | instskip(NEXT) | instid1(VALU_DEP_2)
	v_mov_b64_e32 v[10:11], v[14:15]
	v_mov_b64_e32 v[4:5], v[22:23]
	v_dual_mov_b32 v13, v17 :: v_dual_mov_b32 v12, v16
.LBB19_47:                              ;   in Loop: Header=BB19_4 Depth=1
	s_or_b32 exec_lo, exec_lo, s5
	ds_bpermute_b32 v14, v28, v10
	ds_bpermute_b32 v15, v28, v11
	;; [unrolled: 1-line block ×3, first 2 shown]
	s_wait_dscnt 0x4
	ds_bpermute_b32 v16, v28, v13
	s_mov_b32 s19, exec_lo
	s_wait_dscnt 0x2
	v_cmpx_ne_u64_e32 0, v[14:15]
	s_cbranch_execz .LBB19_49
; %bb.48:                               ;   in Loop: Header=BB19_4 Depth=1
	v_min_i64 v[22:23], v[14:15], v[10:11]
	s_wait_dscnt 0x0
	v_mov_b32_e32 v13, v16
	v_cmp_eq_u64_e64 s5, 0, v[10:11]
	s_delay_alu instid0(VALU_DEP_2) | instskip(NEXT) | instid1(VALU_DEP_4)
	v_cmp_eq_f64_e32 vcc_lo, v[4:5], v[12:13]
	v_cndmask_b32_e32 v3, v10, v22, vcc_lo
	v_cmp_gt_f64_e64 s4, v[4:5], v[12:13]
	v_cndmask_b32_e32 v10, v11, v23, vcc_lo
	s_or_b32 vcc_lo, s5, s4
	s_delay_alu instid0(VALU_DEP_1) | instid1(SALU_CYCLE_1)
	v_dual_cndmask_b32 v5, v5, v16, vcc_lo :: v_dual_cndmask_b32 v11, v10, v15, vcc_lo
	v_dual_cndmask_b32 v10, v3, v14, vcc_lo :: v_dual_cndmask_b32 v4, v4, v12, vcc_lo
.LBB19_49:                              ;   in Loop: Header=BB19_4 Depth=1
	s_or_b32 exec_lo, exec_lo, s19
	s_wait_dscnt 0x1
	s_delay_alu instid0(VALU_DEP_1)
	v_mov_b64_e32 v[12:13], v[4:5]
.LBB19_50:                              ;   in Loop: Header=BB19_4 Depth=1
	s_or_b32 exec_lo, exec_lo, s18
	s_wait_dscnt 0x0
	v_cmp_ne_u64_e32 vcc_lo, 0, v[10:11]
	s_and_b32 s4, s17, vcc_lo
	s_delay_alu instid0(SALU_CYCLE_1)
	s_and_saveexec_b32 s5, s4
	s_cbranch_execz .LBB19_3
; %bb.51:                               ;   in Loop: Header=BB19_4 Depth=1
	v_cmp_nlt_f64_e32 vcc_lo, v[12:13], v[8:9]
	v_cmp_ne_u64_e64 s4, 0, v[6:7]
	v_mov_b64_e32 v[4:5], v[12:13]
	s_and_b32 s18, s4, vcc_lo
	s_delay_alu instid0(SALU_CYCLE_1)
	s_and_saveexec_b32 s4, s18
	s_cbranch_execz .LBB19_2
; %bb.52:                               ;   in Loop: Header=BB19_4 Depth=1
	v_min_i64 v[4:5], v[10:11], v[6:7]
	v_cmp_eq_f64_e32 vcc_lo, v[8:9], v[12:13]
	s_delay_alu instid0(VALU_DEP_2)
	v_dual_cndmask_b32 v11, v7, v5 :: v_dual_cndmask_b32 v10, v6, v4
	v_mov_b64_e32 v[4:5], v[8:9]
	s_branch .LBB19_2
.LBB19_53:
	v_mov_b64_e32 v[6:7], 0
.LBB19_54:
	s_mov_b32 s3, 0
	s_mov_b32 s2, exec_lo
	v_cmpx_eq_u32_e32 0, v0
	s_cbranch_execz .LBB19_56
; %bb.55:
	s_load_b96 s[8:10], s[0:1], 0x28
	v_mov_b32_e32 v0, s16
	s_wait_kmcnt 0x0
	s_mov_b32 s2, s10
	s_delay_alu instid0(SALU_CYCLE_1) | instskip(NEXT) | instid1(SALU_CYCLE_1)
	s_mul_u64 s[0:1], s[2:3], s[6:7]
	s_lshl_b64 s[0:1], s[0:1], 4
	s_delay_alu instid0(SALU_CYCLE_1)
	s_add_nc_u64 s[0:1], s[8:9], s[0:1]
	global_store_b128 v0, v[6:9], s[0:1] scale_offset
.LBB19_56:
	s_endpgm
	.section	.rodata,"a",@progbits
	.p2align	6, 0x0
	.amdhsa_kernel _ZL35rocblas_iamax_iamin_kernel_part1_64ILi1024E26rocblas_fetch_amax_amin_64IdE22rocblas_reduce_amin_64PKPK19rocblas_complex_numIdE24rocblas_index_64_value_tIdEEvlT2_lllPT3_
		.amdhsa_group_segment_fixed_size 512
		.amdhsa_private_segment_fixed_size 0
		.amdhsa_kernarg_size 304
		.amdhsa_user_sgpr_count 2
		.amdhsa_user_sgpr_dispatch_ptr 0
		.amdhsa_user_sgpr_queue_ptr 0
		.amdhsa_user_sgpr_kernarg_segment_ptr 1
		.amdhsa_user_sgpr_dispatch_id 0
		.amdhsa_user_sgpr_kernarg_preload_length 0
		.amdhsa_user_sgpr_kernarg_preload_offset 0
		.amdhsa_user_sgpr_private_segment_size 0
		.amdhsa_wavefront_size32 1
		.amdhsa_uses_dynamic_stack 0
		.amdhsa_enable_private_segment 0
		.amdhsa_system_sgpr_workgroup_id_x 1
		.amdhsa_system_sgpr_workgroup_id_y 0
		.amdhsa_system_sgpr_workgroup_id_z 1
		.amdhsa_system_sgpr_workgroup_info 0
		.amdhsa_system_vgpr_workitem_id 0
		.amdhsa_next_free_vgpr 30
		.amdhsa_next_free_sgpr 20
		.amdhsa_named_barrier_count 0
		.amdhsa_reserve_vcc 1
		.amdhsa_float_round_mode_32 0
		.amdhsa_float_round_mode_16_64 0
		.amdhsa_float_denorm_mode_32 3
		.amdhsa_float_denorm_mode_16_64 3
		.amdhsa_fp16_overflow 0
		.amdhsa_memory_ordered 1
		.amdhsa_forward_progress 1
		.amdhsa_inst_pref_size 18
		.amdhsa_round_robin_scheduling 0
		.amdhsa_exception_fp_ieee_invalid_op 0
		.amdhsa_exception_fp_denorm_src 0
		.amdhsa_exception_fp_ieee_div_zero 0
		.amdhsa_exception_fp_ieee_overflow 0
		.amdhsa_exception_fp_ieee_underflow 0
		.amdhsa_exception_fp_ieee_inexact 0
		.amdhsa_exception_int_div_zero 0
	.end_amdhsa_kernel
	.section	.text._ZL35rocblas_iamax_iamin_kernel_part1_64ILi1024E26rocblas_fetch_amax_amin_64IdE22rocblas_reduce_amin_64PKPK19rocblas_complex_numIdE24rocblas_index_64_value_tIdEEvlT2_lllPT3_,"axG",@progbits,_ZL35rocblas_iamax_iamin_kernel_part1_64ILi1024E26rocblas_fetch_amax_amin_64IdE22rocblas_reduce_amin_64PKPK19rocblas_complex_numIdE24rocblas_index_64_value_tIdEEvlT2_lllPT3_,comdat
.Lfunc_end19:
	.size	_ZL35rocblas_iamax_iamin_kernel_part1_64ILi1024E26rocblas_fetch_amax_amin_64IdE22rocblas_reduce_amin_64PKPK19rocblas_complex_numIdE24rocblas_index_64_value_tIdEEvlT2_lllPT3_, .Lfunc_end19-_ZL35rocblas_iamax_iamin_kernel_part1_64ILi1024E26rocblas_fetch_amax_amin_64IdE22rocblas_reduce_amin_64PKPK19rocblas_complex_numIdE24rocblas_index_64_value_tIdEEvlT2_lllPT3_
                                        ; -- End function
	.set _ZL35rocblas_iamax_iamin_kernel_part1_64ILi1024E26rocblas_fetch_amax_amin_64IdE22rocblas_reduce_amin_64PKPK19rocblas_complex_numIdE24rocblas_index_64_value_tIdEEvlT2_lllPT3_.num_vgpr, 30
	.set _ZL35rocblas_iamax_iamin_kernel_part1_64ILi1024E26rocblas_fetch_amax_amin_64IdE22rocblas_reduce_amin_64PKPK19rocblas_complex_numIdE24rocblas_index_64_value_tIdEEvlT2_lllPT3_.num_agpr, 0
	.set _ZL35rocblas_iamax_iamin_kernel_part1_64ILi1024E26rocblas_fetch_amax_amin_64IdE22rocblas_reduce_amin_64PKPK19rocblas_complex_numIdE24rocblas_index_64_value_tIdEEvlT2_lllPT3_.numbered_sgpr, 20
	.set _ZL35rocblas_iamax_iamin_kernel_part1_64ILi1024E26rocblas_fetch_amax_amin_64IdE22rocblas_reduce_amin_64PKPK19rocblas_complex_numIdE24rocblas_index_64_value_tIdEEvlT2_lllPT3_.num_named_barrier, 0
	.set _ZL35rocblas_iamax_iamin_kernel_part1_64ILi1024E26rocblas_fetch_amax_amin_64IdE22rocblas_reduce_amin_64PKPK19rocblas_complex_numIdE24rocblas_index_64_value_tIdEEvlT2_lllPT3_.private_seg_size, 0
	.set _ZL35rocblas_iamax_iamin_kernel_part1_64ILi1024E26rocblas_fetch_amax_amin_64IdE22rocblas_reduce_amin_64PKPK19rocblas_complex_numIdE24rocblas_index_64_value_tIdEEvlT2_lllPT3_.uses_vcc, 1
	.set _ZL35rocblas_iamax_iamin_kernel_part1_64ILi1024E26rocblas_fetch_amax_amin_64IdE22rocblas_reduce_amin_64PKPK19rocblas_complex_numIdE24rocblas_index_64_value_tIdEEvlT2_lllPT3_.uses_flat_scratch, 0
	.set _ZL35rocblas_iamax_iamin_kernel_part1_64ILi1024E26rocblas_fetch_amax_amin_64IdE22rocblas_reduce_amin_64PKPK19rocblas_complex_numIdE24rocblas_index_64_value_tIdEEvlT2_lllPT3_.has_dyn_sized_stack, 0
	.set _ZL35rocblas_iamax_iamin_kernel_part1_64ILi1024E26rocblas_fetch_amax_amin_64IdE22rocblas_reduce_amin_64PKPK19rocblas_complex_numIdE24rocblas_index_64_value_tIdEEvlT2_lllPT3_.has_recursion, 0
	.set _ZL35rocblas_iamax_iamin_kernel_part1_64ILi1024E26rocblas_fetch_amax_amin_64IdE22rocblas_reduce_amin_64PKPK19rocblas_complex_numIdE24rocblas_index_64_value_tIdEEvlT2_lllPT3_.has_indirect_call, 0
	.section	.AMDGPU.csdata,"",@progbits
; Kernel info:
; codeLenInByte = 2268
; TotalNumSgprs: 22
; NumVgprs: 30
; ScratchSize: 0
; MemoryBound: 0
; FloatMode: 240
; IeeeMode: 1
; LDSByteSize: 512 bytes/workgroup (compile time only)
; SGPRBlocks: 0
; VGPRBlocks: 1
; NumSGPRsForWavesPerEU: 22
; NumVGPRsForWavesPerEU: 30
; NamedBarCnt: 0
; Occupancy: 16
; WaveLimiterHint : 0
; COMPUTE_PGM_RSRC2:SCRATCH_EN: 0
; COMPUTE_PGM_RSRC2:USER_SGPR: 2
; COMPUTE_PGM_RSRC2:TRAP_HANDLER: 0
; COMPUTE_PGM_RSRC2:TGID_X_EN: 1
; COMPUTE_PGM_RSRC2:TGID_Y_EN: 0
; COMPUTE_PGM_RSRC2:TGID_Z_EN: 1
; COMPUTE_PGM_RSRC2:TIDIG_COMP_CNT: 0
	.section	.AMDGPU.gpr_maximums,"",@progbits
	.set amdgpu.max_num_vgpr, 0
	.set amdgpu.max_num_agpr, 0
	.set amdgpu.max_num_sgpr, 0
	.section	.AMDGPU.csdata,"",@progbits
	.type	__hip_cuid_ca01b16468e37777,@object ; @__hip_cuid_ca01b16468e37777
	.section	.bss,"aw",@nobits
	.globl	__hip_cuid_ca01b16468e37777
__hip_cuid_ca01b16468e37777:
	.byte	0                               ; 0x0
	.size	__hip_cuid_ca01b16468e37777, 1

	.ident	"AMD clang version 22.0.0git (https://github.com/RadeonOpenCompute/llvm-project roc-7.2.4 26084 f58b06dce1f9c15707c5f808fd002e18c2accf7e)"
	.section	".note.GNU-stack","",@progbits
	.addrsig
	.addrsig_sym __hip_cuid_ca01b16468e37777
	.amdgpu_metadata
---
amdhsa.kernels:
  - .args:
      - .offset:         0
        .size:           8
        .value_kind:     by_value
      - .address_space:  global
        .offset:         8
        .size:           8
        .value_kind:     global_buffer
      - .offset:         16
        .size:           8
        .value_kind:     by_value
      - .offset:         24
        .size:           8
        .value_kind:     by_value
      - .offset:         32
        .size:           8
        .value_kind:     by_value
      - .address_space:  global
        .offset:         40
        .size:           8
        .value_kind:     global_buffer
      - .offset:         48
        .size:           4
        .value_kind:     hidden_block_count_x
      - .offset:         52
        .size:           4
        .value_kind:     hidden_block_count_y
      - .offset:         56
        .size:           4
        .value_kind:     hidden_block_count_z
      - .offset:         60
        .size:           2
        .value_kind:     hidden_group_size_x
      - .offset:         62
        .size:           2
        .value_kind:     hidden_group_size_y
      - .offset:         64
        .size:           2
        .value_kind:     hidden_group_size_z
      - .offset:         66
        .size:           2
        .value_kind:     hidden_remainder_x
      - .offset:         68
        .size:           2
        .value_kind:     hidden_remainder_y
      - .offset:         70
        .size:           2
        .value_kind:     hidden_remainder_z
      - .offset:         88
        .size:           8
        .value_kind:     hidden_global_offset_x
      - .offset:         96
        .size:           8
        .value_kind:     hidden_global_offset_y
      - .offset:         104
        .size:           8
        .value_kind:     hidden_global_offset_z
      - .offset:         112
        .size:           2
        .value_kind:     hidden_grid_dims
    .group_segment_fixed_size: 512
    .kernarg_segment_align: 8
    .kernarg_segment_size: 304
    .language:       OpenCL C
    .language_version:
      - 2
      - 0
    .max_flat_workgroup_size: 1024
    .name:           _ZL35rocblas_iamax_iamin_kernel_part1_64ILi1024E26rocblas_fetch_amax_amin_64IfE22rocblas_reduce_amax_64PKf24rocblas_index_64_value_tIfEEvlT2_lllPT3_
    .private_segment_fixed_size: 0
    .sgpr_count:     24
    .sgpr_spill_count: 0
    .symbol:         _ZL35rocblas_iamax_iamin_kernel_part1_64ILi1024E26rocblas_fetch_amax_amin_64IfE22rocblas_reduce_amax_64PKf24rocblas_index_64_value_tIfEEvlT2_lllPT3_.kd
    .uniform_work_group_size: 1
    .uses_dynamic_stack: false
    .vgpr_count:     26
    .vgpr_spill_count: 0
    .wavefront_size: 32
  - .args:
      - .offset:         0
        .size:           4
        .value_kind:     by_value
      - .address_space:  global
        .offset:         8
        .size:           8
        .value_kind:     global_buffer
      - .address_space:  global
        .offset:         16
        .size:           8
        .value_kind:     global_buffer
    .group_segment_fixed_size: 512
    .kernarg_segment_align: 8
    .kernarg_segment_size: 24
    .language:       OpenCL C
    .language_version:
      - 2
      - 0
    .max_flat_workgroup_size: 1024
    .name:           _ZL35rocblas_iamax_iamin_kernel_part2_64ILi1024E22rocblas_reduce_amax_6424rocblas_index_64_value_tIfElEviPT1_PT2_
    .private_segment_fixed_size: 0
    .sgpr_count:     12
    .sgpr_spill_count: 0
    .symbol:         _ZL35rocblas_iamax_iamin_kernel_part2_64ILi1024E22rocblas_reduce_amax_6424rocblas_index_64_value_tIfElEviPT1_PT2_.kd
    .uniform_work_group_size: 1
    .uses_dynamic_stack: false
    .vgpr_count:     16
    .vgpr_spill_count: 0
    .wavefront_size: 32
  - .args:
      - .offset:         0
        .size:           8
        .value_kind:     by_value
      - .address_space:  global
        .offset:         8
        .size:           8
        .value_kind:     global_buffer
      - .offset:         16
        .size:           8
        .value_kind:     by_value
      - .offset:         24
        .size:           8
        .value_kind:     by_value
      - .offset:         32
        .size:           8
        .value_kind:     by_value
      - .address_space:  global
        .offset:         40
        .size:           8
        .value_kind:     global_buffer
      - .offset:         48
        .size:           4
        .value_kind:     hidden_block_count_x
      - .offset:         52
        .size:           4
        .value_kind:     hidden_block_count_y
      - .offset:         56
        .size:           4
        .value_kind:     hidden_block_count_z
      - .offset:         60
        .size:           2
        .value_kind:     hidden_group_size_x
      - .offset:         62
        .size:           2
        .value_kind:     hidden_group_size_y
      - .offset:         64
        .size:           2
        .value_kind:     hidden_group_size_z
      - .offset:         66
        .size:           2
        .value_kind:     hidden_remainder_x
      - .offset:         68
        .size:           2
        .value_kind:     hidden_remainder_y
      - .offset:         70
        .size:           2
        .value_kind:     hidden_remainder_z
      - .offset:         88
        .size:           8
        .value_kind:     hidden_global_offset_x
      - .offset:         96
        .size:           8
        .value_kind:     hidden_global_offset_y
      - .offset:         104
        .size:           8
        .value_kind:     hidden_global_offset_z
      - .offset:         112
        .size:           2
        .value_kind:     hidden_grid_dims
    .group_segment_fixed_size: 512
    .kernarg_segment_align: 8
    .kernarg_segment_size: 304
    .language:       OpenCL C
    .language_version:
      - 2
      - 0
    .max_flat_workgroup_size: 1024
    .name:           _ZL35rocblas_iamax_iamin_kernel_part1_64ILi1024E26rocblas_fetch_amax_amin_64IdE22rocblas_reduce_amax_64PKd24rocblas_index_64_value_tIdEEvlT2_lllPT3_
    .private_segment_fixed_size: 0
    .sgpr_count:     24
    .sgpr_spill_count: 0
    .symbol:         _ZL35rocblas_iamax_iamin_kernel_part1_64ILi1024E26rocblas_fetch_amax_amin_64IdE22rocblas_reduce_amax_64PKd24rocblas_index_64_value_tIdEEvlT2_lllPT3_.kd
    .uniform_work_group_size: 1
    .uses_dynamic_stack: false
    .vgpr_count:     30
    .vgpr_spill_count: 0
    .wavefront_size: 32
  - .args:
      - .offset:         0
        .size:           4
        .value_kind:     by_value
      - .address_space:  global
        .offset:         8
        .size:           8
        .value_kind:     global_buffer
      - .address_space:  global
        .offset:         16
        .size:           8
        .value_kind:     global_buffer
    .group_segment_fixed_size: 512
    .kernarg_segment_align: 8
    .kernarg_segment_size: 24
    .language:       OpenCL C
    .language_version:
      - 2
      - 0
    .max_flat_workgroup_size: 1024
    .name:           _ZL35rocblas_iamax_iamin_kernel_part2_64ILi1024E22rocblas_reduce_amax_6424rocblas_index_64_value_tIdElEviPT1_PT2_
    .private_segment_fixed_size: 0
    .sgpr_count:     12
    .sgpr_spill_count: 0
    .symbol:         _ZL35rocblas_iamax_iamin_kernel_part2_64ILi1024E22rocblas_reduce_amax_6424rocblas_index_64_value_tIdElEviPT1_PT2_.kd
    .uniform_work_group_size: 1
    .uses_dynamic_stack: false
    .vgpr_count:     20
    .vgpr_spill_count: 0
    .wavefront_size: 32
  - .args:
      - .offset:         0
        .size:           8
        .value_kind:     by_value
      - .address_space:  global
        .offset:         8
        .size:           8
        .value_kind:     global_buffer
      - .offset:         16
        .size:           8
        .value_kind:     by_value
      - .offset:         24
        .size:           8
        .value_kind:     by_value
      - .offset:         32
        .size:           8
        .value_kind:     by_value
      - .address_space:  global
        .offset:         40
        .size:           8
        .value_kind:     global_buffer
      - .offset:         48
        .size:           4
        .value_kind:     hidden_block_count_x
      - .offset:         52
        .size:           4
        .value_kind:     hidden_block_count_y
      - .offset:         56
        .size:           4
        .value_kind:     hidden_block_count_z
      - .offset:         60
        .size:           2
        .value_kind:     hidden_group_size_x
      - .offset:         62
        .size:           2
        .value_kind:     hidden_group_size_y
      - .offset:         64
        .size:           2
        .value_kind:     hidden_group_size_z
      - .offset:         66
        .size:           2
        .value_kind:     hidden_remainder_x
      - .offset:         68
        .size:           2
        .value_kind:     hidden_remainder_y
      - .offset:         70
        .size:           2
        .value_kind:     hidden_remainder_z
      - .offset:         88
        .size:           8
        .value_kind:     hidden_global_offset_x
      - .offset:         96
        .size:           8
        .value_kind:     hidden_global_offset_y
      - .offset:         104
        .size:           8
        .value_kind:     hidden_global_offset_z
      - .offset:         112
        .size:           2
        .value_kind:     hidden_grid_dims
    .group_segment_fixed_size: 512
    .kernarg_segment_align: 8
    .kernarg_segment_size: 304
    .language:       OpenCL C
    .language_version:
      - 2
      - 0
    .max_flat_workgroup_size: 1024
    .name:           _ZL35rocblas_iamax_iamin_kernel_part1_64ILi1024E26rocblas_fetch_amax_amin_64IfE22rocblas_reduce_amax_64PK19rocblas_complex_numIfE24rocblas_index_64_value_tIfEEvlT2_lllPT3_
    .private_segment_fixed_size: 0
    .sgpr_count:     24
    .sgpr_spill_count: 0
    .symbol:         _ZL35rocblas_iamax_iamin_kernel_part1_64ILi1024E26rocblas_fetch_amax_amin_64IfE22rocblas_reduce_amax_64PK19rocblas_complex_numIfE24rocblas_index_64_value_tIfEEvlT2_lllPT3_.kd
    .uniform_work_group_size: 1
    .uses_dynamic_stack: false
    .vgpr_count:     26
    .vgpr_spill_count: 0
    .wavefront_size: 32
  - .args:
      - .offset:         0
        .size:           8
        .value_kind:     by_value
      - .address_space:  global
        .offset:         8
        .size:           8
        .value_kind:     global_buffer
      - .offset:         16
        .size:           8
        .value_kind:     by_value
      - .offset:         24
        .size:           8
        .value_kind:     by_value
      - .offset:         32
        .size:           8
        .value_kind:     by_value
      - .address_space:  global
        .offset:         40
        .size:           8
        .value_kind:     global_buffer
      - .offset:         48
        .size:           4
        .value_kind:     hidden_block_count_x
      - .offset:         52
        .size:           4
        .value_kind:     hidden_block_count_y
      - .offset:         56
        .size:           4
        .value_kind:     hidden_block_count_z
      - .offset:         60
        .size:           2
        .value_kind:     hidden_group_size_x
      - .offset:         62
        .size:           2
        .value_kind:     hidden_group_size_y
      - .offset:         64
        .size:           2
        .value_kind:     hidden_group_size_z
      - .offset:         66
        .size:           2
        .value_kind:     hidden_remainder_x
      - .offset:         68
        .size:           2
        .value_kind:     hidden_remainder_y
      - .offset:         70
        .size:           2
        .value_kind:     hidden_remainder_z
      - .offset:         88
        .size:           8
        .value_kind:     hidden_global_offset_x
      - .offset:         96
        .size:           8
        .value_kind:     hidden_global_offset_y
      - .offset:         104
        .size:           8
        .value_kind:     hidden_global_offset_z
      - .offset:         112
        .size:           2
        .value_kind:     hidden_grid_dims
    .group_segment_fixed_size: 512
    .kernarg_segment_align: 8
    .kernarg_segment_size: 304
    .language:       OpenCL C
    .language_version:
      - 2
      - 0
    .max_flat_workgroup_size: 1024
    .name:           _ZL35rocblas_iamax_iamin_kernel_part1_64ILi1024E26rocblas_fetch_amax_amin_64IdE22rocblas_reduce_amax_64PK19rocblas_complex_numIdE24rocblas_index_64_value_tIdEEvlT2_lllPT3_
    .private_segment_fixed_size: 0
    .sgpr_count:     24
    .sgpr_spill_count: 0
    .symbol:         _ZL35rocblas_iamax_iamin_kernel_part1_64ILi1024E26rocblas_fetch_amax_amin_64IdE22rocblas_reduce_amax_64PK19rocblas_complex_numIdE24rocblas_index_64_value_tIdEEvlT2_lllPT3_.kd
    .uniform_work_group_size: 1
    .uses_dynamic_stack: false
    .vgpr_count:     30
    .vgpr_spill_count: 0
    .wavefront_size: 32
  - .args:
      - .offset:         0
        .size:           8
        .value_kind:     by_value
      - .address_space:  global
        .offset:         8
        .size:           8
        .value_kind:     global_buffer
      - .offset:         16
        .size:           8
        .value_kind:     by_value
      - .offset:         24
        .size:           8
        .value_kind:     by_value
      - .offset:         32
        .size:           8
        .value_kind:     by_value
      - .address_space:  global
        .offset:         40
        .size:           8
        .value_kind:     global_buffer
      - .offset:         48
        .size:           4
        .value_kind:     hidden_block_count_x
      - .offset:         52
        .size:           4
        .value_kind:     hidden_block_count_y
      - .offset:         56
        .size:           4
        .value_kind:     hidden_block_count_z
      - .offset:         60
        .size:           2
        .value_kind:     hidden_group_size_x
      - .offset:         62
        .size:           2
        .value_kind:     hidden_group_size_y
      - .offset:         64
        .size:           2
        .value_kind:     hidden_group_size_z
      - .offset:         66
        .size:           2
        .value_kind:     hidden_remainder_x
      - .offset:         68
        .size:           2
        .value_kind:     hidden_remainder_y
      - .offset:         70
        .size:           2
        .value_kind:     hidden_remainder_z
      - .offset:         88
        .size:           8
        .value_kind:     hidden_global_offset_x
      - .offset:         96
        .size:           8
        .value_kind:     hidden_global_offset_y
      - .offset:         104
        .size:           8
        .value_kind:     hidden_global_offset_z
      - .offset:         112
        .size:           2
        .value_kind:     hidden_grid_dims
    .group_segment_fixed_size: 512
    .kernarg_segment_align: 8
    .kernarg_segment_size: 304
    .language:       OpenCL C
    .language_version:
      - 2
      - 0
    .max_flat_workgroup_size: 1024
    .name:           _ZL35rocblas_iamax_iamin_kernel_part1_64ILi1024E26rocblas_fetch_amax_amin_64IfE22rocblas_reduce_amax_64PKPKf24rocblas_index_64_value_tIfEEvlT2_lllPT3_
    .private_segment_fixed_size: 0
    .sgpr_count:     22
    .sgpr_spill_count: 0
    .symbol:         _ZL35rocblas_iamax_iamin_kernel_part1_64ILi1024E26rocblas_fetch_amax_amin_64IfE22rocblas_reduce_amax_64PKPKf24rocblas_index_64_value_tIfEEvlT2_lllPT3_.kd
    .uniform_work_group_size: 1
    .uses_dynamic_stack: false
    .vgpr_count:     26
    .vgpr_spill_count: 0
    .wavefront_size: 32
  - .args:
      - .offset:         0
        .size:           8
        .value_kind:     by_value
      - .address_space:  global
        .offset:         8
        .size:           8
        .value_kind:     global_buffer
      - .offset:         16
        .size:           8
        .value_kind:     by_value
      - .offset:         24
        .size:           8
        .value_kind:     by_value
      - .offset:         32
        .size:           8
        .value_kind:     by_value
      - .address_space:  global
        .offset:         40
        .size:           8
        .value_kind:     global_buffer
      - .offset:         48
        .size:           4
        .value_kind:     hidden_block_count_x
      - .offset:         52
        .size:           4
        .value_kind:     hidden_block_count_y
      - .offset:         56
        .size:           4
        .value_kind:     hidden_block_count_z
      - .offset:         60
        .size:           2
        .value_kind:     hidden_group_size_x
      - .offset:         62
        .size:           2
        .value_kind:     hidden_group_size_y
      - .offset:         64
        .size:           2
        .value_kind:     hidden_group_size_z
      - .offset:         66
        .size:           2
        .value_kind:     hidden_remainder_x
      - .offset:         68
        .size:           2
        .value_kind:     hidden_remainder_y
      - .offset:         70
        .size:           2
        .value_kind:     hidden_remainder_z
      - .offset:         88
        .size:           8
        .value_kind:     hidden_global_offset_x
      - .offset:         96
        .size:           8
        .value_kind:     hidden_global_offset_y
      - .offset:         104
        .size:           8
        .value_kind:     hidden_global_offset_z
      - .offset:         112
        .size:           2
        .value_kind:     hidden_grid_dims
    .group_segment_fixed_size: 512
    .kernarg_segment_align: 8
    .kernarg_segment_size: 304
    .language:       OpenCL C
    .language_version:
      - 2
      - 0
    .max_flat_workgroup_size: 1024
    .name:           _ZL35rocblas_iamax_iamin_kernel_part1_64ILi1024E26rocblas_fetch_amax_amin_64IdE22rocblas_reduce_amax_64PKPKd24rocblas_index_64_value_tIdEEvlT2_lllPT3_
    .private_segment_fixed_size: 0
    .sgpr_count:     22
    .sgpr_spill_count: 0
    .symbol:         _ZL35rocblas_iamax_iamin_kernel_part1_64ILi1024E26rocblas_fetch_amax_amin_64IdE22rocblas_reduce_amax_64PKPKd24rocblas_index_64_value_tIdEEvlT2_lllPT3_.kd
    .uniform_work_group_size: 1
    .uses_dynamic_stack: false
    .vgpr_count:     30
    .vgpr_spill_count: 0
    .wavefront_size: 32
  - .args:
      - .offset:         0
        .size:           8
        .value_kind:     by_value
      - .address_space:  global
        .offset:         8
        .size:           8
        .value_kind:     global_buffer
      - .offset:         16
        .size:           8
        .value_kind:     by_value
      - .offset:         24
        .size:           8
        .value_kind:     by_value
      - .offset:         32
        .size:           8
        .value_kind:     by_value
      - .address_space:  global
        .offset:         40
        .size:           8
        .value_kind:     global_buffer
      - .offset:         48
        .size:           4
        .value_kind:     hidden_block_count_x
      - .offset:         52
        .size:           4
        .value_kind:     hidden_block_count_y
      - .offset:         56
        .size:           4
        .value_kind:     hidden_block_count_z
      - .offset:         60
        .size:           2
        .value_kind:     hidden_group_size_x
      - .offset:         62
        .size:           2
        .value_kind:     hidden_group_size_y
      - .offset:         64
        .size:           2
        .value_kind:     hidden_group_size_z
      - .offset:         66
        .size:           2
        .value_kind:     hidden_remainder_x
      - .offset:         68
        .size:           2
        .value_kind:     hidden_remainder_y
      - .offset:         70
        .size:           2
        .value_kind:     hidden_remainder_z
      - .offset:         88
        .size:           8
        .value_kind:     hidden_global_offset_x
      - .offset:         96
        .size:           8
        .value_kind:     hidden_global_offset_y
      - .offset:         104
        .size:           8
        .value_kind:     hidden_global_offset_z
      - .offset:         112
        .size:           2
        .value_kind:     hidden_grid_dims
    .group_segment_fixed_size: 512
    .kernarg_segment_align: 8
    .kernarg_segment_size: 304
    .language:       OpenCL C
    .language_version:
      - 2
      - 0
    .max_flat_workgroup_size: 1024
    .name:           _ZL35rocblas_iamax_iamin_kernel_part1_64ILi1024E26rocblas_fetch_amax_amin_64IfE22rocblas_reduce_amax_64PKPK19rocblas_complex_numIfE24rocblas_index_64_value_tIfEEvlT2_lllPT3_
    .private_segment_fixed_size: 0
    .sgpr_count:     22
    .sgpr_spill_count: 0
    .symbol:         _ZL35rocblas_iamax_iamin_kernel_part1_64ILi1024E26rocblas_fetch_amax_amin_64IfE22rocblas_reduce_amax_64PKPK19rocblas_complex_numIfE24rocblas_index_64_value_tIfEEvlT2_lllPT3_.kd
    .uniform_work_group_size: 1
    .uses_dynamic_stack: false
    .vgpr_count:     26
    .vgpr_spill_count: 0
    .wavefront_size: 32
  - .args:
      - .offset:         0
        .size:           8
        .value_kind:     by_value
      - .address_space:  global
        .offset:         8
        .size:           8
        .value_kind:     global_buffer
      - .offset:         16
        .size:           8
        .value_kind:     by_value
      - .offset:         24
        .size:           8
        .value_kind:     by_value
      - .offset:         32
        .size:           8
        .value_kind:     by_value
      - .address_space:  global
        .offset:         40
        .size:           8
        .value_kind:     global_buffer
      - .offset:         48
        .size:           4
        .value_kind:     hidden_block_count_x
      - .offset:         52
        .size:           4
        .value_kind:     hidden_block_count_y
      - .offset:         56
        .size:           4
        .value_kind:     hidden_block_count_z
      - .offset:         60
        .size:           2
        .value_kind:     hidden_group_size_x
      - .offset:         62
        .size:           2
        .value_kind:     hidden_group_size_y
      - .offset:         64
        .size:           2
        .value_kind:     hidden_group_size_z
      - .offset:         66
        .size:           2
        .value_kind:     hidden_remainder_x
      - .offset:         68
        .size:           2
        .value_kind:     hidden_remainder_y
      - .offset:         70
        .size:           2
        .value_kind:     hidden_remainder_z
      - .offset:         88
        .size:           8
        .value_kind:     hidden_global_offset_x
      - .offset:         96
        .size:           8
        .value_kind:     hidden_global_offset_y
      - .offset:         104
        .size:           8
        .value_kind:     hidden_global_offset_z
      - .offset:         112
        .size:           2
        .value_kind:     hidden_grid_dims
    .group_segment_fixed_size: 512
    .kernarg_segment_align: 8
    .kernarg_segment_size: 304
    .language:       OpenCL C
    .language_version:
      - 2
      - 0
    .max_flat_workgroup_size: 1024
    .name:           _ZL35rocblas_iamax_iamin_kernel_part1_64ILi1024E26rocblas_fetch_amax_amin_64IdE22rocblas_reduce_amax_64PKPK19rocblas_complex_numIdE24rocblas_index_64_value_tIdEEvlT2_lllPT3_
    .private_segment_fixed_size: 0
    .sgpr_count:     22
    .sgpr_spill_count: 0
    .symbol:         _ZL35rocblas_iamax_iamin_kernel_part1_64ILi1024E26rocblas_fetch_amax_amin_64IdE22rocblas_reduce_amax_64PKPK19rocblas_complex_numIdE24rocblas_index_64_value_tIdEEvlT2_lllPT3_.kd
    .uniform_work_group_size: 1
    .uses_dynamic_stack: false
    .vgpr_count:     30
    .vgpr_spill_count: 0
    .wavefront_size: 32
  - .args:
      - .offset:         0
        .size:           8
        .value_kind:     by_value
      - .address_space:  global
        .offset:         8
        .size:           8
        .value_kind:     global_buffer
      - .offset:         16
        .size:           8
        .value_kind:     by_value
      - .offset:         24
        .size:           8
        .value_kind:     by_value
      - .offset:         32
        .size:           8
        .value_kind:     by_value
      - .address_space:  global
        .offset:         40
        .size:           8
        .value_kind:     global_buffer
      - .offset:         48
        .size:           4
        .value_kind:     hidden_block_count_x
      - .offset:         52
        .size:           4
        .value_kind:     hidden_block_count_y
      - .offset:         56
        .size:           4
        .value_kind:     hidden_block_count_z
      - .offset:         60
        .size:           2
        .value_kind:     hidden_group_size_x
      - .offset:         62
        .size:           2
        .value_kind:     hidden_group_size_y
      - .offset:         64
        .size:           2
        .value_kind:     hidden_group_size_z
      - .offset:         66
        .size:           2
        .value_kind:     hidden_remainder_x
      - .offset:         68
        .size:           2
        .value_kind:     hidden_remainder_y
      - .offset:         70
        .size:           2
        .value_kind:     hidden_remainder_z
      - .offset:         88
        .size:           8
        .value_kind:     hidden_global_offset_x
      - .offset:         96
        .size:           8
        .value_kind:     hidden_global_offset_y
      - .offset:         104
        .size:           8
        .value_kind:     hidden_global_offset_z
      - .offset:         112
        .size:           2
        .value_kind:     hidden_grid_dims
    .group_segment_fixed_size: 512
    .kernarg_segment_align: 8
    .kernarg_segment_size: 304
    .language:       OpenCL C
    .language_version:
      - 2
      - 0
    .max_flat_workgroup_size: 1024
    .name:           _ZL35rocblas_iamax_iamin_kernel_part1_64ILi1024E26rocblas_fetch_amax_amin_64IfE22rocblas_reduce_amin_64PKf24rocblas_index_64_value_tIfEEvlT2_lllPT3_
    .private_segment_fixed_size: 0
    .sgpr_count:     24
    .sgpr_spill_count: 0
    .symbol:         _ZL35rocblas_iamax_iamin_kernel_part1_64ILi1024E26rocblas_fetch_amax_amin_64IfE22rocblas_reduce_amin_64PKf24rocblas_index_64_value_tIfEEvlT2_lllPT3_.kd
    .uniform_work_group_size: 1
    .uses_dynamic_stack: false
    .vgpr_count:     26
    .vgpr_spill_count: 0
    .wavefront_size: 32
  - .args:
      - .offset:         0
        .size:           4
        .value_kind:     by_value
      - .address_space:  global
        .offset:         8
        .size:           8
        .value_kind:     global_buffer
      - .address_space:  global
        .offset:         16
        .size:           8
        .value_kind:     global_buffer
    .group_segment_fixed_size: 512
    .kernarg_segment_align: 8
    .kernarg_segment_size: 24
    .language:       OpenCL C
    .language_version:
      - 2
      - 0
    .max_flat_workgroup_size: 1024
    .name:           _ZL35rocblas_iamax_iamin_kernel_part2_64ILi1024E22rocblas_reduce_amin_6424rocblas_index_64_value_tIfElEviPT1_PT2_
    .private_segment_fixed_size: 0
    .sgpr_count:     12
    .sgpr_spill_count: 0
    .symbol:         _ZL35rocblas_iamax_iamin_kernel_part2_64ILi1024E22rocblas_reduce_amin_6424rocblas_index_64_value_tIfElEviPT1_PT2_.kd
    .uniform_work_group_size: 1
    .uses_dynamic_stack: false
    .vgpr_count:     16
    .vgpr_spill_count: 0
    .wavefront_size: 32
  - .args:
      - .offset:         0
        .size:           8
        .value_kind:     by_value
      - .address_space:  global
        .offset:         8
        .size:           8
        .value_kind:     global_buffer
      - .offset:         16
        .size:           8
        .value_kind:     by_value
      - .offset:         24
        .size:           8
        .value_kind:     by_value
      - .offset:         32
        .size:           8
        .value_kind:     by_value
      - .address_space:  global
        .offset:         40
        .size:           8
        .value_kind:     global_buffer
      - .offset:         48
        .size:           4
        .value_kind:     hidden_block_count_x
      - .offset:         52
        .size:           4
        .value_kind:     hidden_block_count_y
      - .offset:         56
        .size:           4
        .value_kind:     hidden_block_count_z
      - .offset:         60
        .size:           2
        .value_kind:     hidden_group_size_x
      - .offset:         62
        .size:           2
        .value_kind:     hidden_group_size_y
      - .offset:         64
        .size:           2
        .value_kind:     hidden_group_size_z
      - .offset:         66
        .size:           2
        .value_kind:     hidden_remainder_x
      - .offset:         68
        .size:           2
        .value_kind:     hidden_remainder_y
      - .offset:         70
        .size:           2
        .value_kind:     hidden_remainder_z
      - .offset:         88
        .size:           8
        .value_kind:     hidden_global_offset_x
      - .offset:         96
        .size:           8
        .value_kind:     hidden_global_offset_y
      - .offset:         104
        .size:           8
        .value_kind:     hidden_global_offset_z
      - .offset:         112
        .size:           2
        .value_kind:     hidden_grid_dims
    .group_segment_fixed_size: 512
    .kernarg_segment_align: 8
    .kernarg_segment_size: 304
    .language:       OpenCL C
    .language_version:
      - 2
      - 0
    .max_flat_workgroup_size: 1024
    .name:           _ZL35rocblas_iamax_iamin_kernel_part1_64ILi1024E26rocblas_fetch_amax_amin_64IdE22rocblas_reduce_amin_64PKd24rocblas_index_64_value_tIdEEvlT2_lllPT3_
    .private_segment_fixed_size: 0
    .sgpr_count:     24
    .sgpr_spill_count: 0
    .symbol:         _ZL35rocblas_iamax_iamin_kernel_part1_64ILi1024E26rocblas_fetch_amax_amin_64IdE22rocblas_reduce_amin_64PKd24rocblas_index_64_value_tIdEEvlT2_lllPT3_.kd
    .uniform_work_group_size: 1
    .uses_dynamic_stack: false
    .vgpr_count:     30
    .vgpr_spill_count: 0
    .wavefront_size: 32
  - .args:
      - .offset:         0
        .size:           4
        .value_kind:     by_value
      - .address_space:  global
        .offset:         8
        .size:           8
        .value_kind:     global_buffer
      - .address_space:  global
        .offset:         16
        .size:           8
        .value_kind:     global_buffer
    .group_segment_fixed_size: 512
    .kernarg_segment_align: 8
    .kernarg_segment_size: 24
    .language:       OpenCL C
    .language_version:
      - 2
      - 0
    .max_flat_workgroup_size: 1024
    .name:           _ZL35rocblas_iamax_iamin_kernel_part2_64ILi1024E22rocblas_reduce_amin_6424rocblas_index_64_value_tIdElEviPT1_PT2_
    .private_segment_fixed_size: 0
    .sgpr_count:     12
    .sgpr_spill_count: 0
    .symbol:         _ZL35rocblas_iamax_iamin_kernel_part2_64ILi1024E22rocblas_reduce_amin_6424rocblas_index_64_value_tIdElEviPT1_PT2_.kd
    .uniform_work_group_size: 1
    .uses_dynamic_stack: false
    .vgpr_count:     20
    .vgpr_spill_count: 0
    .wavefront_size: 32
  - .args:
      - .offset:         0
        .size:           8
        .value_kind:     by_value
      - .address_space:  global
        .offset:         8
        .size:           8
        .value_kind:     global_buffer
      - .offset:         16
        .size:           8
        .value_kind:     by_value
      - .offset:         24
        .size:           8
        .value_kind:     by_value
      - .offset:         32
        .size:           8
        .value_kind:     by_value
      - .address_space:  global
        .offset:         40
        .size:           8
        .value_kind:     global_buffer
      - .offset:         48
        .size:           4
        .value_kind:     hidden_block_count_x
      - .offset:         52
        .size:           4
        .value_kind:     hidden_block_count_y
      - .offset:         56
        .size:           4
        .value_kind:     hidden_block_count_z
      - .offset:         60
        .size:           2
        .value_kind:     hidden_group_size_x
      - .offset:         62
        .size:           2
        .value_kind:     hidden_group_size_y
      - .offset:         64
        .size:           2
        .value_kind:     hidden_group_size_z
      - .offset:         66
        .size:           2
        .value_kind:     hidden_remainder_x
      - .offset:         68
        .size:           2
        .value_kind:     hidden_remainder_y
      - .offset:         70
        .size:           2
        .value_kind:     hidden_remainder_z
      - .offset:         88
        .size:           8
        .value_kind:     hidden_global_offset_x
      - .offset:         96
        .size:           8
        .value_kind:     hidden_global_offset_y
      - .offset:         104
        .size:           8
        .value_kind:     hidden_global_offset_z
      - .offset:         112
        .size:           2
        .value_kind:     hidden_grid_dims
    .group_segment_fixed_size: 512
    .kernarg_segment_align: 8
    .kernarg_segment_size: 304
    .language:       OpenCL C
    .language_version:
      - 2
      - 0
    .max_flat_workgroup_size: 1024
    .name:           _ZL35rocblas_iamax_iamin_kernel_part1_64ILi1024E26rocblas_fetch_amax_amin_64IfE22rocblas_reduce_amin_64PK19rocblas_complex_numIfE24rocblas_index_64_value_tIfEEvlT2_lllPT3_
    .private_segment_fixed_size: 0
    .sgpr_count:     24
    .sgpr_spill_count: 0
    .symbol:         _ZL35rocblas_iamax_iamin_kernel_part1_64ILi1024E26rocblas_fetch_amax_amin_64IfE22rocblas_reduce_amin_64PK19rocblas_complex_numIfE24rocblas_index_64_value_tIfEEvlT2_lllPT3_.kd
    .uniform_work_group_size: 1
    .uses_dynamic_stack: false
    .vgpr_count:     26
    .vgpr_spill_count: 0
    .wavefront_size: 32
  - .args:
      - .offset:         0
        .size:           8
        .value_kind:     by_value
      - .address_space:  global
        .offset:         8
        .size:           8
        .value_kind:     global_buffer
      - .offset:         16
        .size:           8
        .value_kind:     by_value
      - .offset:         24
        .size:           8
        .value_kind:     by_value
      - .offset:         32
        .size:           8
        .value_kind:     by_value
      - .address_space:  global
        .offset:         40
        .size:           8
        .value_kind:     global_buffer
      - .offset:         48
        .size:           4
        .value_kind:     hidden_block_count_x
      - .offset:         52
        .size:           4
        .value_kind:     hidden_block_count_y
      - .offset:         56
        .size:           4
        .value_kind:     hidden_block_count_z
      - .offset:         60
        .size:           2
        .value_kind:     hidden_group_size_x
      - .offset:         62
        .size:           2
        .value_kind:     hidden_group_size_y
      - .offset:         64
        .size:           2
        .value_kind:     hidden_group_size_z
      - .offset:         66
        .size:           2
        .value_kind:     hidden_remainder_x
      - .offset:         68
        .size:           2
        .value_kind:     hidden_remainder_y
      - .offset:         70
        .size:           2
        .value_kind:     hidden_remainder_z
      - .offset:         88
        .size:           8
        .value_kind:     hidden_global_offset_x
      - .offset:         96
        .size:           8
        .value_kind:     hidden_global_offset_y
      - .offset:         104
        .size:           8
        .value_kind:     hidden_global_offset_z
      - .offset:         112
        .size:           2
        .value_kind:     hidden_grid_dims
    .group_segment_fixed_size: 512
    .kernarg_segment_align: 8
    .kernarg_segment_size: 304
    .language:       OpenCL C
    .language_version:
      - 2
      - 0
    .max_flat_workgroup_size: 1024
    .name:           _ZL35rocblas_iamax_iamin_kernel_part1_64ILi1024E26rocblas_fetch_amax_amin_64IdE22rocblas_reduce_amin_64PK19rocblas_complex_numIdE24rocblas_index_64_value_tIdEEvlT2_lllPT3_
    .private_segment_fixed_size: 0
    .sgpr_count:     24
    .sgpr_spill_count: 0
    .symbol:         _ZL35rocblas_iamax_iamin_kernel_part1_64ILi1024E26rocblas_fetch_amax_amin_64IdE22rocblas_reduce_amin_64PK19rocblas_complex_numIdE24rocblas_index_64_value_tIdEEvlT2_lllPT3_.kd
    .uniform_work_group_size: 1
    .uses_dynamic_stack: false
    .vgpr_count:     30
    .vgpr_spill_count: 0
    .wavefront_size: 32
  - .args:
      - .offset:         0
        .size:           8
        .value_kind:     by_value
      - .address_space:  global
        .offset:         8
        .size:           8
        .value_kind:     global_buffer
      - .offset:         16
        .size:           8
        .value_kind:     by_value
      - .offset:         24
        .size:           8
        .value_kind:     by_value
      - .offset:         32
        .size:           8
        .value_kind:     by_value
      - .address_space:  global
        .offset:         40
        .size:           8
        .value_kind:     global_buffer
      - .offset:         48
        .size:           4
        .value_kind:     hidden_block_count_x
      - .offset:         52
        .size:           4
        .value_kind:     hidden_block_count_y
      - .offset:         56
        .size:           4
        .value_kind:     hidden_block_count_z
      - .offset:         60
        .size:           2
        .value_kind:     hidden_group_size_x
      - .offset:         62
        .size:           2
        .value_kind:     hidden_group_size_y
      - .offset:         64
        .size:           2
        .value_kind:     hidden_group_size_z
      - .offset:         66
        .size:           2
        .value_kind:     hidden_remainder_x
      - .offset:         68
        .size:           2
        .value_kind:     hidden_remainder_y
      - .offset:         70
        .size:           2
        .value_kind:     hidden_remainder_z
      - .offset:         88
        .size:           8
        .value_kind:     hidden_global_offset_x
      - .offset:         96
        .size:           8
        .value_kind:     hidden_global_offset_y
      - .offset:         104
        .size:           8
        .value_kind:     hidden_global_offset_z
      - .offset:         112
        .size:           2
        .value_kind:     hidden_grid_dims
    .group_segment_fixed_size: 512
    .kernarg_segment_align: 8
    .kernarg_segment_size: 304
    .language:       OpenCL C
    .language_version:
      - 2
      - 0
    .max_flat_workgroup_size: 1024
    .name:           _ZL35rocblas_iamax_iamin_kernel_part1_64ILi1024E26rocblas_fetch_amax_amin_64IfE22rocblas_reduce_amin_64PKPKf24rocblas_index_64_value_tIfEEvlT2_lllPT3_
    .private_segment_fixed_size: 0
    .sgpr_count:     22
    .sgpr_spill_count: 0
    .symbol:         _ZL35rocblas_iamax_iamin_kernel_part1_64ILi1024E26rocblas_fetch_amax_amin_64IfE22rocblas_reduce_amin_64PKPKf24rocblas_index_64_value_tIfEEvlT2_lllPT3_.kd
    .uniform_work_group_size: 1
    .uses_dynamic_stack: false
    .vgpr_count:     26
    .vgpr_spill_count: 0
    .wavefront_size: 32
  - .args:
      - .offset:         0
        .size:           8
        .value_kind:     by_value
      - .address_space:  global
        .offset:         8
        .size:           8
        .value_kind:     global_buffer
      - .offset:         16
        .size:           8
        .value_kind:     by_value
      - .offset:         24
        .size:           8
        .value_kind:     by_value
      - .offset:         32
        .size:           8
        .value_kind:     by_value
      - .address_space:  global
        .offset:         40
        .size:           8
        .value_kind:     global_buffer
      - .offset:         48
        .size:           4
        .value_kind:     hidden_block_count_x
      - .offset:         52
        .size:           4
        .value_kind:     hidden_block_count_y
      - .offset:         56
        .size:           4
        .value_kind:     hidden_block_count_z
      - .offset:         60
        .size:           2
        .value_kind:     hidden_group_size_x
      - .offset:         62
        .size:           2
        .value_kind:     hidden_group_size_y
      - .offset:         64
        .size:           2
        .value_kind:     hidden_group_size_z
      - .offset:         66
        .size:           2
        .value_kind:     hidden_remainder_x
      - .offset:         68
        .size:           2
        .value_kind:     hidden_remainder_y
      - .offset:         70
        .size:           2
        .value_kind:     hidden_remainder_z
      - .offset:         88
        .size:           8
        .value_kind:     hidden_global_offset_x
      - .offset:         96
        .size:           8
        .value_kind:     hidden_global_offset_y
      - .offset:         104
        .size:           8
        .value_kind:     hidden_global_offset_z
      - .offset:         112
        .size:           2
        .value_kind:     hidden_grid_dims
    .group_segment_fixed_size: 512
    .kernarg_segment_align: 8
    .kernarg_segment_size: 304
    .language:       OpenCL C
    .language_version:
      - 2
      - 0
    .max_flat_workgroup_size: 1024
    .name:           _ZL35rocblas_iamax_iamin_kernel_part1_64ILi1024E26rocblas_fetch_amax_amin_64IdE22rocblas_reduce_amin_64PKPKd24rocblas_index_64_value_tIdEEvlT2_lllPT3_
    .private_segment_fixed_size: 0
    .sgpr_count:     22
    .sgpr_spill_count: 0
    .symbol:         _ZL35rocblas_iamax_iamin_kernel_part1_64ILi1024E26rocblas_fetch_amax_amin_64IdE22rocblas_reduce_amin_64PKPKd24rocblas_index_64_value_tIdEEvlT2_lllPT3_.kd
    .uniform_work_group_size: 1
    .uses_dynamic_stack: false
    .vgpr_count:     30
    .vgpr_spill_count: 0
    .wavefront_size: 32
  - .args:
      - .offset:         0
        .size:           8
        .value_kind:     by_value
      - .address_space:  global
        .offset:         8
        .size:           8
        .value_kind:     global_buffer
      - .offset:         16
        .size:           8
        .value_kind:     by_value
      - .offset:         24
        .size:           8
        .value_kind:     by_value
      - .offset:         32
        .size:           8
        .value_kind:     by_value
      - .address_space:  global
        .offset:         40
        .size:           8
        .value_kind:     global_buffer
      - .offset:         48
        .size:           4
        .value_kind:     hidden_block_count_x
      - .offset:         52
        .size:           4
        .value_kind:     hidden_block_count_y
      - .offset:         56
        .size:           4
        .value_kind:     hidden_block_count_z
      - .offset:         60
        .size:           2
        .value_kind:     hidden_group_size_x
      - .offset:         62
        .size:           2
        .value_kind:     hidden_group_size_y
      - .offset:         64
        .size:           2
        .value_kind:     hidden_group_size_z
      - .offset:         66
        .size:           2
        .value_kind:     hidden_remainder_x
      - .offset:         68
        .size:           2
        .value_kind:     hidden_remainder_y
      - .offset:         70
        .size:           2
        .value_kind:     hidden_remainder_z
      - .offset:         88
        .size:           8
        .value_kind:     hidden_global_offset_x
      - .offset:         96
        .size:           8
        .value_kind:     hidden_global_offset_y
      - .offset:         104
        .size:           8
        .value_kind:     hidden_global_offset_z
      - .offset:         112
        .size:           2
        .value_kind:     hidden_grid_dims
    .group_segment_fixed_size: 512
    .kernarg_segment_align: 8
    .kernarg_segment_size: 304
    .language:       OpenCL C
    .language_version:
      - 2
      - 0
    .max_flat_workgroup_size: 1024
    .name:           _ZL35rocblas_iamax_iamin_kernel_part1_64ILi1024E26rocblas_fetch_amax_amin_64IfE22rocblas_reduce_amin_64PKPK19rocblas_complex_numIfE24rocblas_index_64_value_tIfEEvlT2_lllPT3_
    .private_segment_fixed_size: 0
    .sgpr_count:     22
    .sgpr_spill_count: 0
    .symbol:         _ZL35rocblas_iamax_iamin_kernel_part1_64ILi1024E26rocblas_fetch_amax_amin_64IfE22rocblas_reduce_amin_64PKPK19rocblas_complex_numIfE24rocblas_index_64_value_tIfEEvlT2_lllPT3_.kd
    .uniform_work_group_size: 1
    .uses_dynamic_stack: false
    .vgpr_count:     26
    .vgpr_spill_count: 0
    .wavefront_size: 32
  - .args:
      - .offset:         0
        .size:           8
        .value_kind:     by_value
      - .address_space:  global
        .offset:         8
        .size:           8
        .value_kind:     global_buffer
      - .offset:         16
        .size:           8
        .value_kind:     by_value
      - .offset:         24
        .size:           8
        .value_kind:     by_value
      - .offset:         32
        .size:           8
        .value_kind:     by_value
      - .address_space:  global
        .offset:         40
        .size:           8
        .value_kind:     global_buffer
      - .offset:         48
        .size:           4
        .value_kind:     hidden_block_count_x
      - .offset:         52
        .size:           4
        .value_kind:     hidden_block_count_y
      - .offset:         56
        .size:           4
        .value_kind:     hidden_block_count_z
      - .offset:         60
        .size:           2
        .value_kind:     hidden_group_size_x
      - .offset:         62
        .size:           2
        .value_kind:     hidden_group_size_y
      - .offset:         64
        .size:           2
        .value_kind:     hidden_group_size_z
      - .offset:         66
        .size:           2
        .value_kind:     hidden_remainder_x
      - .offset:         68
        .size:           2
        .value_kind:     hidden_remainder_y
      - .offset:         70
        .size:           2
        .value_kind:     hidden_remainder_z
      - .offset:         88
        .size:           8
        .value_kind:     hidden_global_offset_x
      - .offset:         96
        .size:           8
        .value_kind:     hidden_global_offset_y
      - .offset:         104
        .size:           8
        .value_kind:     hidden_global_offset_z
      - .offset:         112
        .size:           2
        .value_kind:     hidden_grid_dims
    .group_segment_fixed_size: 512
    .kernarg_segment_align: 8
    .kernarg_segment_size: 304
    .language:       OpenCL C
    .language_version:
      - 2
      - 0
    .max_flat_workgroup_size: 1024
    .name:           _ZL35rocblas_iamax_iamin_kernel_part1_64ILi1024E26rocblas_fetch_amax_amin_64IdE22rocblas_reduce_amin_64PKPK19rocblas_complex_numIdE24rocblas_index_64_value_tIdEEvlT2_lllPT3_
    .private_segment_fixed_size: 0
    .sgpr_count:     22
    .sgpr_spill_count: 0
    .symbol:         _ZL35rocblas_iamax_iamin_kernel_part1_64ILi1024E26rocblas_fetch_amax_amin_64IdE22rocblas_reduce_amin_64PKPK19rocblas_complex_numIdE24rocblas_index_64_value_tIdEEvlT2_lllPT3_.kd
    .uniform_work_group_size: 1
    .uses_dynamic_stack: false
    .vgpr_count:     30
    .vgpr_spill_count: 0
    .wavefront_size: 32
amdhsa.target:   amdgcn-amd-amdhsa--gfx1250
amdhsa.version:
  - 1
  - 2
...

	.end_amdgpu_metadata
